;; amdgpu-corpus repo=pytorch/pytorch kind=compiled arch=gfx1250 opt=O3
	.amdgcn_target "amdgcn-amd-amdhsa--gfx1250"
	.amdhsa_code_object_version 6
	.section	.text._ZN2at6native12_GLOBAL__N_124philox_single_key_kernelIdZZZZNS0_21_philox_uniform_cuda_ERNS_6TensorERKS3_ddENKUlvE_clEvENKUlvE_clEvENKUlvE_clEvEUlmmE_ZZZNS0_21_philox_uniform_cuda_ES4_S6_ddENKS7_clEvENKS8_clEvEUlT_E_EEvPSB_PKmlT0_T1_,"axG",@progbits,_ZN2at6native12_GLOBAL__N_124philox_single_key_kernelIdZZZZNS0_21_philox_uniform_cuda_ERNS_6TensorERKS3_ddENKUlvE_clEvENKUlvE_clEvENKUlvE_clEvEUlmmE_ZZZNS0_21_philox_uniform_cuda_ES4_S6_ddENKS7_clEvENKS8_clEvEUlT_E_EEvPSB_PKmlT0_T1_,comdat
	.globl	_ZN2at6native12_GLOBAL__N_124philox_single_key_kernelIdZZZZNS0_21_philox_uniform_cuda_ERNS_6TensorERKS3_ddENKUlvE_clEvENKUlvE_clEvENKUlvE_clEvEUlmmE_ZZZNS0_21_philox_uniform_cuda_ES4_S6_ddENKS7_clEvENKS8_clEvEUlT_E_EEvPSB_PKmlT0_T1_ ; -- Begin function _ZN2at6native12_GLOBAL__N_124philox_single_key_kernelIdZZZZNS0_21_philox_uniform_cuda_ERNS_6TensorERKS3_ddENKUlvE_clEvENKUlvE_clEvENKUlvE_clEvEUlmmE_ZZZNS0_21_philox_uniform_cuda_ES4_S6_ddENKS7_clEvENKS8_clEvEUlT_E_EEvPSB_PKmlT0_T1_
	.p2align	8
	.type	_ZN2at6native12_GLOBAL__N_124philox_single_key_kernelIdZZZZNS0_21_philox_uniform_cuda_ERNS_6TensorERKS3_ddENKUlvE_clEvENKUlvE_clEvENKUlvE_clEvEUlmmE_ZZZNS0_21_philox_uniform_cuda_ES4_S6_ddENKS7_clEvENKS8_clEvEUlT_E_EEvPSB_PKmlT0_T1_,@function
_ZN2at6native12_GLOBAL__N_124philox_single_key_kernelIdZZZZNS0_21_philox_uniform_cuda_ERNS_6TensorERKS3_ddENKUlvE_clEvENKUlvE_clEvENKUlvE_clEvEUlmmE_ZZZNS0_21_philox_uniform_cuda_ES4_S6_ddENKS7_clEvENKS8_clEvEUlT_E_EEvPSB_PKmlT0_T1_: ; @_ZN2at6native12_GLOBAL__N_124philox_single_key_kernelIdZZZZNS0_21_philox_uniform_cuda_ERNS_6TensorERKS3_ddENKUlvE_clEvENKUlvE_clEvENKUlvE_clEvEUlmmE_ZZZNS0_21_philox_uniform_cuda_ES4_S6_ddENKS7_clEvENKS8_clEvEUlT_E_EEvPSB_PKmlT0_T1_
; %bb.0:
	s_clause 0x3
	s_load_b64 s[16:17], s[2:3], 0x10
	s_load_b32 s12, s[2:3], 0x3c
	s_load_b128 s[8:11], s[2:3], 0x0
	s_load_b128 s[4:7], s[2:3], 0x20
	s_wait_xcnt 0x0
	s_bfe_u32 s2, ttmp6, 0x4000c
	s_mov_b32 s3, 0
	s_add_co_i32 s2, s2, 1
	s_and_b32 s13, ttmp6, 15
	s_mul_i32 s15, ttmp9, s2
	s_getreg_b32 s14, hwreg(HW_REG_IB_STS2, 6, 4)
	s_add_co_i32 s19, s13, s15
	v_mov_b32_e32 v3, 0
	v_and_b32_e32 v2, 0x3ff, v0
	s_wait_kmcnt 0x0
	s_lshr_b32 s2, s17, 31
	s_and_b32 s18, s12, 0xffff
	s_add_nc_u64 s[2:3], s[16:17], s[2:3]
	s_delay_alu instid0(SALU_CYCLE_1) | instskip(SKIP_4) | instid1(SALU_CYCLE_1)
	s_ashr_i64 s[2:3], s[2:3], 1
	s_cmp_eq_u32 s14, 0
	s_load_b128 s[12:15], s[10:11], 0x0
	s_wait_xcnt 0x0
	s_cselect_b32 s10, ttmp9, s19
	v_mad_nc_u64_u32 v[4:5], s18, s10, v[2:3]
	s_mov_b32 s10, exec_lo
	s_delay_alu instid0(VALU_DEP_1)
	v_cmpx_gt_i64_e64 s[2:3], v[4:5]
	s_cbranch_execz .LBB0_2
; %bb.1:
	s_wait_kmcnt 0x0
	v_add_nc_u64_e32 v[6:7], s[14:15], v[4:5]
	v_mov_b32_e32 v9, v3
	s_mov_b64 s[18:19], 0xd2511f53
	v_mov_b32_e32 v11, v3
	s_mov_b64 s[20:21], 0xcd9e8d57
	s_add_co_i32 s11, s13, 0xbb67ae85
	s_delay_alu instid0(VALU_DEP_3) | instskip(SKIP_1) | instid1(VALU_DEP_2)
	v_dual_mov_b32 v8, v6 :: v_dual_bitop2_b32 v10, s12, v7 bitop3:0x14
	v_mul_lo_u32 v1, 0xd2511f53, v6
	v_mul_u64_e32 v[8:9], s[18:19], v[8:9]
	s_delay_alu instid0(VALU_DEP_1) | instskip(NEXT) | instid1(VALU_DEP_4)
	v_dual_mov_b32 v13, v3 :: v_dual_bitop2_b32 v12, s13, v9 bitop3:0x14
	v_mul_u64_e32 v[8:9], s[18:19], v[10:11]
	s_add_co_i32 s18, s12, 0x9e3779b9
	v_mul_lo_u32 v8, 0xd2511f53, v10
	s_delay_alu instid0(VALU_DEP_3) | instskip(SKIP_1) | instid1(VALU_DEP_4)
	v_mul_u64_e32 v[14:15], s[20:21], v[12:13]
	v_mul_lo_u32 v6, 0xcd9e8d57, v12
	v_xor3_b32 v1, v1, s11, v9
	s_add_co_i32 s11, s12, 0x3c6ef372
	s_delay_alu instid0(VALU_DEP_3) | instskip(NEXT) | instid1(VALU_DEP_2)
	v_xor_b32_e32 v3, s18, v15
	v_mul_hi_u32 v7, 0xcd9e8d57, v1
	s_add_co_i32 s18, s13, 0x76cf5d0a
	v_mul_lo_u32 v1, 0xcd9e8d57, v1
	s_delay_alu instid0(VALU_DEP_3) | instskip(SKIP_1) | instid1(VALU_DEP_4)
	v_mul_hi_u32 v9, 0xd2511f53, v3
	v_mul_lo_u32 v3, 0xd2511f53, v3
	v_xor3_b32 v6, v6, s11, v7
	s_add_co_i32 s11, s13, 0x32370b8f
	s_delay_alu instid0(VALU_DEP_3) | instskip(NEXT) | instid1(VALU_DEP_2)
	v_xor3_b32 v7, v8, s18, v9
	v_mul_hi_u32 v8, 0xd2511f53, v6
	s_add_co_i32 s18, s12, 0xdaa66d2b
	v_mul_lo_u32 v6, 0xd2511f53, v6
	s_delay_alu instid0(VALU_DEP_3) | instskip(SKIP_1) | instid1(VALU_DEP_4)
	v_mul_hi_u32 v9, 0xcd9e8d57, v7
	v_mul_lo_u32 v7, 0xcd9e8d57, v7
	v_xor3_b32 v3, v3, s11, v8
	s_add_co_i32 s11, s12, 0x78dde6e4
	s_delay_alu instid0(VALU_DEP_3) | instskip(NEXT) | instid1(VALU_DEP_2)
	v_xor3_b32 v1, v1, s18, v9
	;; [unrolled: 10-line block ×6, first 2 shown]
	v_mul_hi_u32 v8, 0xcd9e8d57, v3
	s_add_co_i32 s18, s13, 0xdb3d7428
	v_mul_lo_u32 v3, 0x1e8d57, v3
	s_delay_alu instid0(VALU_DEP_3) | instskip(SKIP_1) | instid1(VALU_DEP_4)
	v_mul_hi_u32 v9, 0xd2511f53, v1
	v_mul_lo_u32 v1, 0x111f53, v1
	v_xor3_b32 v10, v7, s11, v8
	s_add_co_i32 s11, s12, 0x134781
	s_delay_alu instid0(VALU_DEP_4) | instid1(SALU_CYCLE_1)
	v_xor_b32_e32 v3, s11, v3
	s_delay_alu instid0(VALU_DEP_4) | instskip(NEXT) | instid1(VALU_DEP_3)
	v_xor3_b32 v11, v6, s18, v9
	v_mul_hi_u32 v7, 0xd2511f53, v10
	s_add_co_i32 s18, s13, 0x522ad
	s_delay_alu instid0(SALU_CYCLE_1) | instskip(NEXT) | instid1(VALU_DEP_3)
	v_xor_b32_e32 v1, s18, v1
	v_mul_hi_u32 v6, 0xcd9e8d57, v11
	s_delay_alu instid0(VALU_DEP_2) | instskip(NEXT) | instid1(VALU_DEP_2)
	v_bitop3_b32 v1, v1, 0x1fffff, v7 bitop3:0x48
	v_bitop3_b32 v3, v3, 0x1fffff, v6 bitop3:0x48
	s_delay_alu instid0(VALU_DEP_2) | instskip(SKIP_1) | instid1(VALU_DEP_3)
	v_cvt_f64_u32_e32 v[8:9], v1
	v_mul_lo_u32 v1, 0xd2511f53, v10
	v_cvt_f64_u32_e32 v[6:7], v3
	v_mul_lo_u32 v3, 0xcd9e8d57, v11
	s_delay_alu instid0(VALU_DEP_3) | instskip(NEXT) | instid1(VALU_DEP_2)
	v_cvt_f64_u32_e32 v[10:11], v1
	v_cvt_f64_u32_e32 v[12:13], v3
	v_ldexp_f64 v[8:9], v[8:9], 32
	v_ldexp_f64 v[6:7], v[6:7], 32
	s_delay_alu instid0(VALU_DEP_2) | instskip(SKIP_1) | instid1(VALU_DEP_3)
	v_add_f64_e32 v[8:9], v[8:9], v[10:11]
	v_add_f64_e64 v[10:11], s[6:7], -s[4:5]
	v_add_f64_e32 v[6:7], v[6:7], v[12:13]
	s_delay_alu instid0(VALU_DEP_3) | instskip(NEXT) | instid1(VALU_DEP_2)
	v_ldexp_f64 v[8:9], v[8:9], 0xffffffcb
	v_ldexp_f64 v[6:7], v[6:7], 0xffffffcb
	s_delay_alu instid0(VALU_DEP_2) | instskip(NEXT) | instid1(VALU_DEP_2)
	v_fma_f64 v[8:9], v[10:11], v[8:9], s[4:5]
	v_fma_f64 v[6:7], v[10:11], v[6:7], s[4:5]
	v_lshl_add_u64 v[10:11], v[4:5], 4, s[8:9]
	global_store_b128 v[10:11], v[6:9], off
.LBB0_2:
	s_wait_xcnt 0x0
	s_or_b32 exec_lo, exec_lo, s10
	s_delay_alu instid0(SALU_CYCLE_1)
	s_mov_b32 s10, exec_lo
	v_cmpx_eq_u64_e64 s[2:3], v[4:5]
	s_cbranch_execz .LBB0_6
; %bb.3:
	s_load_b64 s[10:11], s[0:1], 0x4
	v_bfe_u32 v1, v0, 10, 10
	s_wait_xcnt 0x0
	s_lshl_b64 s[0:1], s[2:3], 1
	s_wait_kmcnt 0x0
	s_add_nc_u64 s[2:3], s[14:15], s[2:3]
	s_mov_b64 s[14:15], 0xffffffff
	s_mov_b64 s[18:19], 0xd2511f53
	s_and_b64 s[14:15], s[2:3], s[14:15]
	s_mov_b32 s21, 0
	s_mul_i32 s29, s2, 0xd2511f53
	s_xor_b32 s2, s3, s12
	s_mov_b32 s3, s21
	s_add_co_i32 s26, s13, 0xbb67ae85
	s_mov_b64 s[22:23], 0xcd9e8d57
	s_mul_i32 s30, s2, 0xd2511f53
	s_mul_u64 s[2:3], s[2:3], s[18:19]
	s_add_co_i32 s25, s12, 0x9e3779b9
	s_xor_b32 s2, s29, s26
	s_add_co_i32 s27, s12, 0x3c6ef372
	s_add_co_i32 s28, s13, 0x76cf5d0a
	s_xor_b32 s2, s2, s3
	s_lshr_b32 s10, s10, 16
	v_mul_u32_u24_e32 v1, s11, v1
	s_mul_i32 s20, s10, s11
	s_mul_u64 s[10:11], s[14:15], s[18:19]
	s_add_co_i32 s24, s12, 0x8ff34781
	s_xor_b64 s[10:11], s[10:11], s[12:13]
	v_mad_u32 v1, s20, v2, v1
	s_mov_b32 s20, s11
	s_mul_i32 s10, s11, 0xcd9e8d57
	s_mul_u64 s[14:15], s[20:21], s[22:23]
	s_mul_i32 s14, s2, 0xcd9e8d57
	s_xor_b32 s3, s25, s15
	s_mul_hi_u32 s2, s2, 0xcd9e8d57
	s_mul_i32 s11, s3, 0xd2511f53
	s_mul_hi_u32 s3, s3, 0xd2511f53
	s_xor_b32 s10, s10, s27
	s_xor_b32 s15, s30, s28
	s_xor_b32 s2, s10, s2
	s_xor_b32 s3, s15, s3
	s_add_co_i32 s10, s12, 0xdaa66d2b
	s_add_co_i32 s15, s13, 0x32370b8f
	s_mul_i32 s18, s2, 0xd2511f53
	s_mul_hi_u32 s2, s2, 0xd2511f53
	s_mul_i32 s19, s3, 0xcd9e8d57
	s_mul_hi_u32 s3, s3, 0xcd9e8d57
	s_xor_b32 s10, s14, s10
	s_xor_b32 s11, s11, s15
	s_xor_b32 s3, s10, s3
	s_xor_b32 s2, s11, s2
	s_add_co_i32 s10, s12, 0x78dde6e4
	s_add_co_i32 s11, s13, 0xed9eba14
	s_mul_i32 s14, s3, 0xd2511f53
	;; [unrolled: 10-line block ×6, first 2 shown]
	s_mul_hi_u32 s3, s3, 0xd2511f53
	s_mul_i32 s14, s2, 0xcd9e8d57
	s_mul_hi_u32 s2, s2, 0xcd9e8d57
	s_xor_b32 s10, s19, s10
	s_xor_b32 s11, s18, s11
	;; [unrolled: 1-line block ×4, first 2 shown]
	s_add_co_i32 s10, s13, 0x96a522ad
	s_mul_i32 s11, s2, 0xd2511f53
	s_mul_hi_u32 s2, s2, 0xd2511f53
	s_mul_i32 s13, s3, 0xcd9e8d57
	s_mul_hi_u32 s3, s3, 0xcd9e8d57
	s_xor_b32 s14, s14, s24
	s_xor_b32 s10, s12, s10
	;; [unrolled: 1-line block ×4, first 2 shown]
	s_sub_nc_u64 s[2:3], s[16:17], s[0:1]
	v_bfe_u32 v0, v0, 20, 10
	v_dual_mov_b32 v4, s13 :: v_dual_mov_b32 v5, s12
	v_cmp_lt_i64_e64 s13, s[2:3], 1
	v_dual_mov_b32 v6, s11 :: v_dual_mov_b32 v7, s10
	s_delay_alu instid0(VALU_DEP_4)
	v_add_lshl_u32 v2, v1, v0, 4
	s_and_b32 vcc_lo, exec_lo, s13
	ds_store_b128 v2, v[4:7]
	s_cbranch_vccnz .LBB0_6
; %bb.4:
	v_add_f64_e64 v[0:1], s[6:7], -s[4:5]
	v_mov_b32_e32 v3, 0
	s_lshl_b64 s[0:1], s[0:1], 3
	s_mov_b64 s[6:7], 0
	s_add_nc_u64 s[0:1], s[8:9], s[0:1]
.LBB0_5:                                ; =>This Inner Loop Header: Depth=1
	ds_load_b64 v[4:5], v2
	s_add_nc_u64 s[6:7], s[6:7], 1
	v_add_nc_u32_e32 v2, 8, v2
	v_cmp_gt_i64_e64 s8, s[2:3], s[6:7]
	s_and_b32 vcc_lo, exec_lo, s8
	s_wait_dscnt 0x0
	v_and_b32_e32 v5, 0x1fffff, v5
	s_delay_alu instid0(VALU_DEP_1) | instskip(SKIP_1) | instid1(VALU_DEP_2)
	v_cvt_f64_u32_e32 v[6:7], v5
	v_cvt_f64_u32_e32 v[4:5], v4
	v_ldexp_f64 v[6:7], v[6:7], 32
	s_delay_alu instid0(VALU_DEP_1) | instskip(NEXT) | instid1(VALU_DEP_1)
	v_add_f64_e32 v[4:5], v[6:7], v[4:5]
	v_ldexp_f64 v[4:5], v[4:5], 0xffffffcb
	s_delay_alu instid0(VALU_DEP_1)
	v_fma_f64 v[4:5], v[0:1], v[4:5], s[4:5]
	global_store_b64 v3, v[4:5], s[0:1]
	s_wait_xcnt 0x0
	s_add_nc_u64 s[0:1], s[0:1], 8
	s_cbranch_vccnz .LBB0_5
.LBB0_6:
	s_endpgm
	.section	.rodata,"a",@progbits
	.p2align	6, 0x0
	.amdhsa_kernel _ZN2at6native12_GLOBAL__N_124philox_single_key_kernelIdZZZZNS0_21_philox_uniform_cuda_ERNS_6TensorERKS3_ddENKUlvE_clEvENKUlvE_clEvENKUlvE_clEvEUlmmE_ZZZNS0_21_philox_uniform_cuda_ES4_S6_ddENKS7_clEvENKS8_clEvEUlT_E_EEvPSB_PKmlT0_T1_
		.amdhsa_group_segment_fixed_size 16384
		.amdhsa_private_segment_fixed_size 0
		.amdhsa_kernarg_size 304
		.amdhsa_user_sgpr_count 4
		.amdhsa_user_sgpr_dispatch_ptr 1
		.amdhsa_user_sgpr_queue_ptr 0
		.amdhsa_user_sgpr_kernarg_segment_ptr 1
		.amdhsa_user_sgpr_dispatch_id 0
		.amdhsa_user_sgpr_kernarg_preload_length 0
		.amdhsa_user_sgpr_kernarg_preload_offset 0
		.amdhsa_user_sgpr_private_segment_size 0
		.amdhsa_wavefront_size32 1
		.amdhsa_uses_dynamic_stack 0
		.amdhsa_enable_private_segment 0
		.amdhsa_system_sgpr_workgroup_id_x 1
		.amdhsa_system_sgpr_workgroup_id_y 0
		.amdhsa_system_sgpr_workgroup_id_z 0
		.amdhsa_system_sgpr_workgroup_info 0
		.amdhsa_system_vgpr_workitem_id 2
		.amdhsa_next_free_vgpr 16
		.amdhsa_next_free_sgpr 31
		.amdhsa_named_barrier_count 0
		.amdhsa_reserve_vcc 1
		.amdhsa_float_round_mode_32 0
		.amdhsa_float_round_mode_16_64 0
		.amdhsa_float_denorm_mode_32 3
		.amdhsa_float_denorm_mode_16_64 3
		.amdhsa_fp16_overflow 0
		.amdhsa_memory_ordered 1
		.amdhsa_forward_progress 1
		.amdhsa_inst_pref_size 17
		.amdhsa_round_robin_scheduling 0
		.amdhsa_exception_fp_ieee_invalid_op 0
		.amdhsa_exception_fp_denorm_src 0
		.amdhsa_exception_fp_ieee_div_zero 0
		.amdhsa_exception_fp_ieee_overflow 0
		.amdhsa_exception_fp_ieee_underflow 0
		.amdhsa_exception_fp_ieee_inexact 0
		.amdhsa_exception_int_div_zero 0
	.end_amdhsa_kernel
	.section	.text._ZN2at6native12_GLOBAL__N_124philox_single_key_kernelIdZZZZNS0_21_philox_uniform_cuda_ERNS_6TensorERKS3_ddENKUlvE_clEvENKUlvE_clEvENKUlvE_clEvEUlmmE_ZZZNS0_21_philox_uniform_cuda_ES4_S6_ddENKS7_clEvENKS8_clEvEUlT_E_EEvPSB_PKmlT0_T1_,"axG",@progbits,_ZN2at6native12_GLOBAL__N_124philox_single_key_kernelIdZZZZNS0_21_philox_uniform_cuda_ERNS_6TensorERKS3_ddENKUlvE_clEvENKUlvE_clEvENKUlvE_clEvEUlmmE_ZZZNS0_21_philox_uniform_cuda_ES4_S6_ddENKS7_clEvENKS8_clEvEUlT_E_EEvPSB_PKmlT0_T1_,comdat
.Lfunc_end0:
	.size	_ZN2at6native12_GLOBAL__N_124philox_single_key_kernelIdZZZZNS0_21_philox_uniform_cuda_ERNS_6TensorERKS3_ddENKUlvE_clEvENKUlvE_clEvENKUlvE_clEvEUlmmE_ZZZNS0_21_philox_uniform_cuda_ES4_S6_ddENKS7_clEvENKS8_clEvEUlT_E_EEvPSB_PKmlT0_T1_, .Lfunc_end0-_ZN2at6native12_GLOBAL__N_124philox_single_key_kernelIdZZZZNS0_21_philox_uniform_cuda_ERNS_6TensorERKS3_ddENKUlvE_clEvENKUlvE_clEvENKUlvE_clEvEUlmmE_ZZZNS0_21_philox_uniform_cuda_ES4_S6_ddENKS7_clEvENKS8_clEvEUlT_E_EEvPSB_PKmlT0_T1_
                                        ; -- End function
	.set _ZN2at6native12_GLOBAL__N_124philox_single_key_kernelIdZZZZNS0_21_philox_uniform_cuda_ERNS_6TensorERKS3_ddENKUlvE_clEvENKUlvE_clEvENKUlvE_clEvEUlmmE_ZZZNS0_21_philox_uniform_cuda_ES4_S6_ddENKS7_clEvENKS8_clEvEUlT_E_EEvPSB_PKmlT0_T1_.num_vgpr, 16
	.set _ZN2at6native12_GLOBAL__N_124philox_single_key_kernelIdZZZZNS0_21_philox_uniform_cuda_ERNS_6TensorERKS3_ddENKUlvE_clEvENKUlvE_clEvENKUlvE_clEvEUlmmE_ZZZNS0_21_philox_uniform_cuda_ES4_S6_ddENKS7_clEvENKS8_clEvEUlT_E_EEvPSB_PKmlT0_T1_.num_agpr, 0
	.set _ZN2at6native12_GLOBAL__N_124philox_single_key_kernelIdZZZZNS0_21_philox_uniform_cuda_ERNS_6TensorERKS3_ddENKUlvE_clEvENKUlvE_clEvENKUlvE_clEvEUlmmE_ZZZNS0_21_philox_uniform_cuda_ES4_S6_ddENKS7_clEvENKS8_clEvEUlT_E_EEvPSB_PKmlT0_T1_.numbered_sgpr, 31
	.set _ZN2at6native12_GLOBAL__N_124philox_single_key_kernelIdZZZZNS0_21_philox_uniform_cuda_ERNS_6TensorERKS3_ddENKUlvE_clEvENKUlvE_clEvENKUlvE_clEvEUlmmE_ZZZNS0_21_philox_uniform_cuda_ES4_S6_ddENKS7_clEvENKS8_clEvEUlT_E_EEvPSB_PKmlT0_T1_.num_named_barrier, 0
	.set _ZN2at6native12_GLOBAL__N_124philox_single_key_kernelIdZZZZNS0_21_philox_uniform_cuda_ERNS_6TensorERKS3_ddENKUlvE_clEvENKUlvE_clEvENKUlvE_clEvEUlmmE_ZZZNS0_21_philox_uniform_cuda_ES4_S6_ddENKS7_clEvENKS8_clEvEUlT_E_EEvPSB_PKmlT0_T1_.private_seg_size, 0
	.set _ZN2at6native12_GLOBAL__N_124philox_single_key_kernelIdZZZZNS0_21_philox_uniform_cuda_ERNS_6TensorERKS3_ddENKUlvE_clEvENKUlvE_clEvENKUlvE_clEvEUlmmE_ZZZNS0_21_philox_uniform_cuda_ES4_S6_ddENKS7_clEvENKS8_clEvEUlT_E_EEvPSB_PKmlT0_T1_.uses_vcc, 1
	.set _ZN2at6native12_GLOBAL__N_124philox_single_key_kernelIdZZZZNS0_21_philox_uniform_cuda_ERNS_6TensorERKS3_ddENKUlvE_clEvENKUlvE_clEvENKUlvE_clEvEUlmmE_ZZZNS0_21_philox_uniform_cuda_ES4_S6_ddENKS7_clEvENKS8_clEvEUlT_E_EEvPSB_PKmlT0_T1_.uses_flat_scratch, 0
	.set _ZN2at6native12_GLOBAL__N_124philox_single_key_kernelIdZZZZNS0_21_philox_uniform_cuda_ERNS_6TensorERKS3_ddENKUlvE_clEvENKUlvE_clEvENKUlvE_clEvEUlmmE_ZZZNS0_21_philox_uniform_cuda_ES4_S6_ddENKS7_clEvENKS8_clEvEUlT_E_EEvPSB_PKmlT0_T1_.has_dyn_sized_stack, 0
	.set _ZN2at6native12_GLOBAL__N_124philox_single_key_kernelIdZZZZNS0_21_philox_uniform_cuda_ERNS_6TensorERKS3_ddENKUlvE_clEvENKUlvE_clEvENKUlvE_clEvEUlmmE_ZZZNS0_21_philox_uniform_cuda_ES4_S6_ddENKS7_clEvENKS8_clEvEUlT_E_EEvPSB_PKmlT0_T1_.has_recursion, 0
	.set _ZN2at6native12_GLOBAL__N_124philox_single_key_kernelIdZZZZNS0_21_philox_uniform_cuda_ERNS_6TensorERKS3_ddENKUlvE_clEvENKUlvE_clEvENKUlvE_clEvEUlmmE_ZZZNS0_21_philox_uniform_cuda_ES4_S6_ddENKS7_clEvENKS8_clEvEUlT_E_EEvPSB_PKmlT0_T1_.has_indirect_call, 0
	.section	.AMDGPU.csdata,"",@progbits
; Kernel info:
; codeLenInByte = 2072
; TotalNumSgprs: 33
; NumVgprs: 16
; ScratchSize: 0
; MemoryBound: 0
; FloatMode: 240
; IeeeMode: 1
; LDSByteSize: 16384 bytes/workgroup (compile time only)
; SGPRBlocks: 0
; VGPRBlocks: 0
; NumSGPRsForWavesPerEU: 33
; NumVGPRsForWavesPerEU: 16
; NamedBarCnt: 0
; Occupancy: 16
; WaveLimiterHint : 0
; COMPUTE_PGM_RSRC2:SCRATCH_EN: 0
; COMPUTE_PGM_RSRC2:USER_SGPR: 4
; COMPUTE_PGM_RSRC2:TRAP_HANDLER: 0
; COMPUTE_PGM_RSRC2:TGID_X_EN: 1
; COMPUTE_PGM_RSRC2:TGID_Y_EN: 0
; COMPUTE_PGM_RSRC2:TGID_Z_EN: 0
; COMPUTE_PGM_RSRC2:TIDIG_COMP_CNT: 2
	.section	.text._ZN2at6native12_GLOBAL__N_123philox_multi_key_kernelIdZZZZNS0_21_philox_uniform_cuda_ERNS_6TensorERKS3_ddENKUlvE_clEvENKUlvE_clEvENKUlvE_clEvEUlmmE_ZZZNS0_21_philox_uniform_cuda_ES4_S6_ddENKS7_clEvENKS8_clEvEUlT_E_EEvPSB_PKmllT0_T1_16OffsetCalculatorILi1EjLb0EE,"axG",@progbits,_ZN2at6native12_GLOBAL__N_123philox_multi_key_kernelIdZZZZNS0_21_philox_uniform_cuda_ERNS_6TensorERKS3_ddENKUlvE_clEvENKUlvE_clEvENKUlvE_clEvEUlmmE_ZZZNS0_21_philox_uniform_cuda_ES4_S6_ddENKS7_clEvENKS8_clEvEUlT_E_EEvPSB_PKmllT0_T1_16OffsetCalculatorILi1EjLb0EE,comdat
	.globl	_ZN2at6native12_GLOBAL__N_123philox_multi_key_kernelIdZZZZNS0_21_philox_uniform_cuda_ERNS_6TensorERKS3_ddENKUlvE_clEvENKUlvE_clEvENKUlvE_clEvEUlmmE_ZZZNS0_21_philox_uniform_cuda_ES4_S6_ddENKS7_clEvENKS8_clEvEUlT_E_EEvPSB_PKmllT0_T1_16OffsetCalculatorILi1EjLb0EE ; -- Begin function _ZN2at6native12_GLOBAL__N_123philox_multi_key_kernelIdZZZZNS0_21_philox_uniform_cuda_ERNS_6TensorERKS3_ddENKUlvE_clEvENKUlvE_clEvENKUlvE_clEvEUlmmE_ZZZNS0_21_philox_uniform_cuda_ES4_S6_ddENKS7_clEvENKS8_clEvEUlT_E_EEvPSB_PKmllT0_T1_16OffsetCalculatorILi1EjLb0EE
	.p2align	8
	.type	_ZN2at6native12_GLOBAL__N_123philox_multi_key_kernelIdZZZZNS0_21_philox_uniform_cuda_ERNS_6TensorERKS3_ddENKUlvE_clEvENKUlvE_clEvENKUlvE_clEvEUlmmE_ZZZNS0_21_philox_uniform_cuda_ES4_S6_ddENKS7_clEvENKS8_clEvEUlT_E_EEvPSB_PKmllT0_T1_16OffsetCalculatorILi1EjLb0EE,@function
_ZN2at6native12_GLOBAL__N_123philox_multi_key_kernelIdZZZZNS0_21_philox_uniform_cuda_ERNS_6TensorERKS3_ddENKUlvE_clEvENKUlvE_clEvENKUlvE_clEvEUlmmE_ZZZNS0_21_philox_uniform_cuda_ES4_S6_ddENKS7_clEvENKS8_clEvEUlT_E_EEvPSB_PKmllT0_T1_16OffsetCalculatorILi1EjLb0EE: ; @_ZN2at6native12_GLOBAL__N_123philox_multi_key_kernelIdZZZZNS0_21_philox_uniform_cuda_ERNS_6TensorERKS3_ddENKUlvE_clEvENKUlvE_clEvENKUlvE_clEvEUlmmE_ZZZNS0_21_philox_uniform_cuda_ES4_S6_ddENKS7_clEvENKS8_clEvEUlT_E_EEvPSB_PKmllT0_T1_16OffsetCalculatorILi1EjLb0EE
; %bb.0:
	s_clause 0x1
	s_load_b128 s[4:7], s[0:1], 0x10
	s_load_b32 s10, s[0:1], 0x14c
	s_bfe_u32 s2, ttmp6, 0x4000c
	v_mov_b32_e32 v2, 0
	s_add_co_i32 s2, s2, 1
	s_mov_b32 s3, 0
	s_mul_i32 s15, ttmp9, s2
	s_and_b32 s11, ttmp6, 15
	s_getreg_b32 s14, hwreg(HW_REG_IB_STS2, 6, 4)
	v_mov_b32_e32 v1, v2
	s_add_co_i32 s11, s11, s15
	s_wait_kmcnt 0x0
	s_add_nc_u64 s[8:9], s[6:7], 1
	s_delay_alu instid0(SALU_CYCLE_1) | instskip(NEXT) | instid1(SALU_CYCLE_1)
	s_lshr_b32 s2, s9, 31
	s_add_nc_u64 s[2:3], s[8:9], s[2:3]
	s_and_b32 s8, s10, 0xffff
	s_ashr_i64 s[12:13], s[2:3], 1
	s_cmp_eq_u32 s14, 0
	s_cselect_b32 s2, ttmp9, s11
	s_delay_alu instid0(SALU_CYCLE_1)
	v_mad_nc_u64_u32 v[0:1], s8, s2, v[0:1]
	s_mul_u64 s[2:3], s[12:13], s[4:5]
	s_delay_alu instid0(VALU_DEP_1) | instid1(SALU_CYCLE_1)
	v_cmp_gt_i64_e32 vcc_lo, s[2:3], v[0:1]
	s_and_saveexec_b32 s2, vcc_lo
	s_cbranch_execz .LBB1_22
; %bb.1:
	v_or_b32_e32 v3, s13, v1
	s_delay_alu instid0(VALU_DEP_1) | instskip(SKIP_1) | instid1(SALU_CYCLE_1)
	v_cmp_ne_u64_e32 vcc_lo, 0, v[2:3]
                                        ; implicit-def: $vgpr2_vgpr3
	s_and_saveexec_b32 s2, vcc_lo
	s_xor_b32 s3, exec_lo, s2
	s_cbranch_execz .LBB1_3
; %bb.2:
	s_ashr_i32 s4, s13, 31
	s_mov_b32 s19, 0
	s_mov_b32 s5, s4
	v_dual_mov_b32 v7, 0 :: v_dual_ashrrev_i32 v2, 31, v1
	s_add_nc_u64 s[8:9], s[12:13], s[4:5]
	s_delay_alu instid0(SALU_CYCLE_1) | instskip(NEXT) | instid1(VALU_DEP_1)
	s_xor_b64 s[8:9], s[8:9], s[4:5]
	v_mov_b32_e32 v3, v2
	s_cvt_f32_u32 s2, s8
	s_cvt_f32_u32 s5, s9
	s_sub_nc_u64 s[14:15], 0, s[8:9]
	s_delay_alu instid0(VALU_DEP_1) | instskip(NEXT) | instid1(SALU_CYCLE_1)
	v_add_nc_u64_e32 v[4:5], v[0:1], v[2:3]
	s_fmamk_f32 s2, s5, 0x4f800000, s2
	v_mov_b32_e32 v9, v7
	s_delay_alu instid0(SALU_CYCLE_2) | instskip(NEXT) | instid1(VALU_DEP_2)
	v_s_rcp_f32 s2, s2
	v_xor_b32_e32 v6, v4, v2
	s_delay_alu instid0(VALU_DEP_3) | instskip(SKIP_1) | instid1(TRANS32_DEP_1)
	v_dual_mov_b32 v15, v7 :: v_dual_bitop2_b32 v8, v5, v2 bitop3:0x14
	v_xor_b32_e32 v2, s4, v2
	s_mul_f32 s2, s2, 0x5f7ffffc
	s_delay_alu instid0(SALU_CYCLE_3) | instskip(NEXT) | instid1(SALU_CYCLE_3)
	s_mul_f32 s5, s2, 0x2f800000
	s_trunc_f32 s5, s5
	s_delay_alu instid0(SALU_CYCLE_3) | instskip(SKIP_1) | instid1(SALU_CYCLE_2)
	s_fmamk_f32 s2, s5, 0xcf800000, s2
	s_cvt_u32_f32 s11, s5
	s_cvt_u32_f32 s10, s2
	s_delay_alu instid0(SALU_CYCLE_3) | instskip(NEXT) | instid1(SALU_CYCLE_1)
	s_mul_u64 s[16:17], s[14:15], s[10:11]
	s_mul_hi_u32 s21, s10, s17
	s_mul_i32 s20, s10, s17
	s_mul_hi_u32 s18, s10, s16
	s_mul_i32 s5, s11, s16
	s_add_nc_u64 s[20:21], s[18:19], s[20:21]
	s_mul_hi_u32 s2, s11, s16
	s_mul_hi_u32 s22, s11, s17
	s_add_co_u32 s5, s20, s5
	s_add_co_ci_u32 s18, s21, s2
	s_mul_i32 s16, s11, s17
	s_add_co_ci_u32 s17, s22, 0
	s_delay_alu instid0(SALU_CYCLE_1) | instskip(NEXT) | instid1(SALU_CYCLE_1)
	s_add_nc_u64 s[16:17], s[18:19], s[16:17]
	s_add_co_u32 s10, s10, s16
	s_cselect_b32 s2, -1, 0
	s_delay_alu instid0(SALU_CYCLE_1) | instskip(SKIP_1) | instid1(SALU_CYCLE_1)
	s_cmp_lg_u32 s2, 0
	s_add_co_ci_u32 s11, s11, s17
	s_mul_u64 s[14:15], s[14:15], s[10:11]
	s_delay_alu instid0(SALU_CYCLE_1)
	s_mul_hi_u32 s17, s10, s15
	s_mul_i32 s16, s10, s15
	s_mul_hi_u32 s18, s10, s14
	s_mul_i32 s5, s11, s14
	s_add_nc_u64 s[16:17], s[18:19], s[16:17]
	s_mul_hi_u32 s2, s11, s14
	s_mul_hi_u32 s20, s11, s15
	s_add_co_u32 s5, s16, s5
	s_add_co_ci_u32 s18, s17, s2
	s_mul_i32 s14, s11, s15
	s_add_co_ci_u32 s15, s20, 0
	s_delay_alu instid0(SALU_CYCLE_1) | instskip(NEXT) | instid1(SALU_CYCLE_1)
	s_add_nc_u64 s[14:15], s[18:19], s[14:15]
	s_add_co_u32 s2, s10, s14
	s_cselect_b32 s5, -1, 0
	v_mul_hi_u32 v14, v6, s2
	s_cmp_lg_u32 s5, 0
	s_add_co_ci_u32 s18, s11, s15
	s_mov_b64 s[10:11], 0xffffffff
	v_mul_u64_e32 v[10:11], s[18:19], v[6:7]
	s_and_b64 s[10:11], s[2:3], s[10:11]
	v_mul_u64_e32 v[12:13], s[18:19], v[8:9]
	v_mul_u64_e32 v[4:5], s[10:11], v[8:9]
	s_delay_alu instid0(VALU_DEP_3) | instskip(NEXT) | instid1(VALU_DEP_1)
	v_add_nc_u64_e32 v[10:11], v[14:15], v[10:11]
	v_add_co_u32 v3, vcc_lo, v10, v4
	s_delay_alu instid0(VALU_DEP_2) | instskip(SKIP_1) | instid1(VALU_DEP_1)
	v_add_co_ci_u32_e32 v14, vcc_lo, v11, v5, vcc_lo
	v_add_co_ci_u32_e32 v13, vcc_lo, 0, v13, vcc_lo
	v_add_nc_u64_e32 v[4:5], v[14:15], v[12:13]
	s_delay_alu instid0(VALU_DEP_1) | instskip(NEXT) | instid1(VALU_DEP_1)
	v_mul_u64_e32 v[10:11], s[8:9], v[4:5]
	v_sub_nc_u32_e32 v3, v8, v11
	s_delay_alu instid0(VALU_DEP_2) | instskip(NEXT) | instid1(VALU_DEP_1)
	v_sub_co_u32 v6, vcc_lo, v6, v10
	v_sub_co_ci_u32_e64 v10, null, v8, v11, vcc_lo
	s_delay_alu instid0(VALU_DEP_3) | instskip(NEXT) | instid1(VALU_DEP_3)
	v_subrev_co_ci_u32_e64 v3, null, s9, v3, vcc_lo
	v_sub_co_u32 v7, s2, v6, s8
	s_delay_alu instid0(VALU_DEP_1) | instskip(NEXT) | instid1(VALU_DEP_2)
	v_subrev_co_ci_u32_e64 v3, null, 0, v3, s2
	v_cmp_le_u32_e32 vcc_lo, s8, v7
	v_cndmask_b32_e64 v7, 0, -1, vcc_lo
	s_delay_alu instid0(VALU_DEP_3)
	v_cmp_le_u32_e32 vcc_lo, s9, v3
	v_cndmask_b32_e64 v8, 0, -1, vcc_lo
	v_cmp_le_u32_e32 vcc_lo, s8, v6
	v_cndmask_b32_e64 v11, 0, -1, vcc_lo
	;; [unrolled: 2-line block ×3, first 2 shown]
	v_cmp_eq_u32_e32 vcc_lo, s9, v3
	v_cndmask_b32_e32 v3, v8, v7, vcc_lo
	v_cmp_eq_u32_e32 vcc_lo, s9, v10
	v_add_nc_u64_e32 v[6:7], 2, v[4:5]
	v_add_nc_u64_e32 v[8:9], 1, v[4:5]
	v_cndmask_b32_e32 v10, v12, v11, vcc_lo
	v_cmp_ne_u32_e32 vcc_lo, 0, v3
	s_delay_alu instid0(VALU_DEP_2) | instskip(NEXT) | instid1(VALU_DEP_4)
	v_cmp_ne_u32_e64 s2, 0, v10
	v_dual_cndmask_b32 v6, v8, v6 :: v_dual_cndmask_b32 v3, v9, v7
	s_delay_alu instid0(VALU_DEP_1) | instskip(NEXT) | instid1(VALU_DEP_1)
	v_dual_cndmask_b32 v4, v4, v6, s2 :: v_dual_cndmask_b32 v5, v5, v3, s2
	v_dual_mov_b32 v3, v2 :: v_dual_bitop2_b32 v4, v4, v2 bitop3:0x14
	s_delay_alu instid0(VALU_DEP_2) | instskip(NEXT) | instid1(VALU_DEP_1)
	v_xor_b32_e32 v5, v5, v2
	v_sub_nc_u64_e32 v[2:3], v[4:5], v[2:3]
.LBB1_3:
	s_and_not1_saveexec_b32 s2, s3
	s_cbranch_execz .LBB1_5
; %bb.4:
	v_cvt_f32_u32_e32 v2, s12
	s_sub_co_i32 s3, 0, s12
	s_delay_alu instid0(VALU_DEP_1) | instskip(SKIP_1) | instid1(TRANS32_DEP_1)
	v_rcp_iflag_f32_e32 v2, v2
	v_nop
	v_mul_f32_e32 v2, 0x4f7ffffe, v2
	s_delay_alu instid0(VALU_DEP_1) | instskip(NEXT) | instid1(VALU_DEP_1)
	v_cvt_u32_f32_e32 v2, v2
	v_mul_lo_u32 v3, s3, v2
	s_delay_alu instid0(VALU_DEP_1) | instskip(NEXT) | instid1(VALU_DEP_1)
	v_mul_hi_u32 v3, v2, v3
	v_add_nc_u32_e32 v2, v2, v3
	s_delay_alu instid0(VALU_DEP_1) | instskip(NEXT) | instid1(VALU_DEP_1)
	v_mul_hi_u32 v2, v0, v2
	v_mul_lo_u32 v3, v2, s12
	s_delay_alu instid0(VALU_DEP_1) | instskip(NEXT) | instid1(VALU_DEP_1)
	v_dual_add_nc_u32 v4, 1, v2 :: v_dual_sub_nc_u32 v3, v0, v3
	v_subrev_nc_u32_e32 v5, s12, v3
	v_cmp_le_u32_e32 vcc_lo, s12, v3
	s_delay_alu instid0(VALU_DEP_2) | instskip(NEXT) | instid1(VALU_DEP_1)
	v_dual_cndmask_b32 v3, v3, v5 :: v_dual_cndmask_b32 v2, v2, v4
	v_cmp_le_u32_e32 vcc_lo, s12, v3
	s_delay_alu instid0(VALU_DEP_2) | instskip(NEXT) | instid1(VALU_DEP_1)
	v_dual_mov_b32 v3, 0 :: v_dual_add_nc_u32 v4, 1, v2
	v_cndmask_b32_e32 v2, v2, v4, vcc_lo
.LBB1_5:
	s_or_b32 exec_lo, exec_lo, s2
	s_clause 0x1
	s_load_b32 s16, s[0:1], 0x38
	s_load_b64 s[2:3], s[0:1], 0x8
	s_add_nc_u64 s[4:5], s[0:1], 56
	s_mov_b32 s17, -1
                                        ; implicit-def: $vgpr6
	s_wait_kmcnt 0x0
	s_add_co_i32 s8, s16, -1
	s_delay_alu instid0(SALU_CYCLE_1)
	s_cmp_lt_u32 s8, 2
	s_cbranch_scc1 .LBB1_15
; %bb.6:
	s_cmp_lg_u32 s16, 0
	s_mov_b32 s17, 0
	s_cbranch_scc0 .LBB1_11
; %bb.7:
	s_min_u32 s9, s8, 15
	s_delay_alu instid0(SALU_CYCLE_1)
	s_add_co_i32 s9, s9, 1
	s_cmp_eq_u32 s8, 2
	s_cbranch_scc1 .LBB1_12
; %bb.8:
	v_dual_mov_b32 v6, 0 :: v_dual_mov_b32 v4, v2
	s_and_b32 s8, s9, 28
	s_add_nc_u64 s[10:11], s[4:5], 0xc4
	s_mov_b32 s18, 0
	s_mov_b64 s[14:15], s[4:5]
.LBB1_9:                                ; =>This Inner Loop Header: Depth=1
	s_clause 0x1
	s_load_b256 s[20:27], s[14:15], 0x4
	s_load_b128 s[28:31], s[14:15], 0x24
	s_load_b128 s[36:39], s[10:11], 0x0
	s_add_co_i32 s18, s18, 4
	s_wait_xcnt 0x0
	s_add_nc_u64 s[14:15], s[14:15], 48
	s_cmp_lg_u32 s8, s18
	s_add_nc_u64 s[10:11], s[10:11], 16
	s_wait_kmcnt 0x0
	v_mul_hi_u32 v5, s21, v4
	s_delay_alu instid0(VALU_DEP_1) | instskip(NEXT) | instid1(VALU_DEP_1)
	v_add_nc_u32_e32 v5, v4, v5
	v_lshrrev_b32_e32 v5, s22, v5
	s_delay_alu instid0(VALU_DEP_1) | instskip(NEXT) | instid1(VALU_DEP_1)
	v_mul_hi_u32 v7, s24, v5
	v_add_nc_u32_e32 v7, v5, v7
	s_delay_alu instid0(VALU_DEP_1) | instskip(NEXT) | instid1(VALU_DEP_1)
	v_lshrrev_b32_e32 v7, s25, v7
	v_mul_hi_u32 v8, s27, v7
	s_delay_alu instid0(VALU_DEP_1) | instskip(SKIP_1) | instid1(VALU_DEP_2)
	v_add_nc_u32_e32 v8, v7, v8
	v_mul_lo_u32 v9, v5, s20
	v_lshrrev_b32_e32 v8, s28, v8
	s_delay_alu instid0(VALU_DEP_1) | instskip(NEXT) | instid1(VALU_DEP_3)
	v_mul_hi_u32 v10, s30, v8
	v_sub_nc_u32_e32 v4, v4, v9
	v_mul_lo_u32 v9, v7, s23
	s_delay_alu instid0(VALU_DEP_1) | instskip(NEXT) | instid1(VALU_DEP_3)
	v_sub_nc_u32_e32 v5, v5, v9
	v_mad_u32 v4, v4, s36, v6
	v_mul_lo_u32 v6, v8, s26
	v_add_nc_u32_e32 v9, v8, v10
	s_delay_alu instid0(VALU_DEP_3) | instskip(NEXT) | instid1(VALU_DEP_2)
	v_mad_u32 v5, v5, s37, v4
	v_dual_lshrrev_b32 v4, s31, v9 :: v_dual_sub_nc_u32 v6, v7, v6
	s_delay_alu instid0(VALU_DEP_1) | instskip(NEXT) | instid1(VALU_DEP_2)
	v_mul_lo_u32 v7, v4, s29
	v_mad_u32 v5, v6, s38, v5
	s_delay_alu instid0(VALU_DEP_2) | instskip(NEXT) | instid1(VALU_DEP_1)
	v_sub_nc_u32_e32 v6, v8, v7
	v_mad_u32 v6, v6, s39, v5
	s_cbranch_scc1 .LBB1_9
; %bb.10:
	s_and_b32 s14, s9, 3
	s_mov_b32 s9, 0
	s_cmp_eq_u32 s14, 0
	s_cbranch_scc0 .LBB1_13
	s_branch .LBB1_15
.LBB1_11:
	v_mov_b32_e32 v6, 0
	s_branch .LBB1_15
.LBB1_12:
	v_dual_mov_b32 v6, 0 :: v_dual_mov_b32 v4, v2
	s_mov_b32 s8, 0
	s_and_b32 s14, s9, 3
	s_mov_b32 s9, 0
	s_cmp_eq_u32 s14, 0
	s_cbranch_scc1 .LBB1_15
.LBB1_13:
	s_lshl_b32 s10, s8, 2
	s_mov_b32 s11, s9
	s_mul_u64 s[18:19], s[8:9], 12
	s_add_nc_u64 s[10:11], s[4:5], s[10:11]
	s_delay_alu instid0(SALU_CYCLE_1)
	s_add_nc_u64 s[8:9], s[10:11], 0xc4
	s_add_nc_u64 s[10:11], s[4:5], s[18:19]
.LBB1_14:                               ; =>This Inner Loop Header: Depth=1
	s_load_b96 s[20:22], s[10:11], 0x4
	s_load_b32 s15, s[8:9], 0x0
	s_add_co_i32 s14, s14, -1
	s_wait_xcnt 0x0
	s_add_nc_u64 s[10:11], s[10:11], 12
	s_cmp_lg_u32 s14, 0
	s_add_nc_u64 s[8:9], s[8:9], 4
	s_wait_kmcnt 0x0
	v_mul_hi_u32 v5, s21, v4
	s_delay_alu instid0(VALU_DEP_1) | instskip(NEXT) | instid1(VALU_DEP_1)
	v_add_nc_u32_e32 v5, v4, v5
	v_lshrrev_b32_e32 v5, s22, v5
	s_delay_alu instid0(VALU_DEP_1) | instskip(NEXT) | instid1(VALU_DEP_1)
	v_mul_lo_u32 v7, v5, s20
	v_sub_nc_u32_e32 v4, v4, v7
	s_delay_alu instid0(VALU_DEP_1)
	v_mad_u32 v6, v4, s15, v6
	v_mov_b32_e32 v4, v5
	s_cbranch_scc1 .LBB1_14
.LBB1_15:
	s_load_b128 s[8:11], s[0:1], 0x28
	s_and_not1_b32 vcc_lo, exec_lo, s17
	s_cbranch_vccnz .LBB1_18
; %bb.16:
	s_clause 0x1
	s_load_b96 s[20:22], s[4:5], 0x4
	s_load_b32 s17, s[4:5], 0xc4
	v_dual_mov_b32 v5, 0 :: v_dual_mov_b32 v4, v2
	s_mov_b32 s15, 0
	s_cmp_lt_u32 s16, 2
	s_wait_kmcnt 0x0
	s_mov_b32 s14, s21
	s_delay_alu instid0(SALU_CYCLE_1) | instskip(NEXT) | instid1(VALU_DEP_1)
	v_mul_u64_e32 v[4:5], s[14:15], v[4:5]
	v_add_nc_u32_e32 v4, v5, v2
	s_delay_alu instid0(VALU_DEP_1) | instskip(NEXT) | instid1(VALU_DEP_1)
	v_lshrrev_b32_e32 v4, s22, v4
	v_mul_lo_u32 v5, v4, s20
	s_delay_alu instid0(VALU_DEP_1) | instskip(NEXT) | instid1(VALU_DEP_1)
	v_sub_nc_u32_e32 v5, v2, v5
	v_mul_lo_u32 v6, v5, s17
	s_cbranch_scc1 .LBB1_18
; %bb.17:
	s_clause 0x1
	s_load_b96 s[16:18], s[4:5], 0x10
	s_load_b32 s14, s[4:5], 0xc8
	s_wait_kmcnt 0x0
	v_mul_hi_u32 v5, s17, v4
	s_delay_alu instid0(VALU_DEP_1) | instskip(NEXT) | instid1(VALU_DEP_1)
	v_add_nc_u32_e32 v5, v4, v5
	v_lshrrev_b32_e32 v5, s18, v5
	s_delay_alu instid0(VALU_DEP_1) | instskip(NEXT) | instid1(VALU_DEP_1)
	v_mul_lo_u32 v5, v5, s16
	v_sub_nc_u32_e32 v4, v4, v5
	s_delay_alu instid0(VALU_DEP_1)
	v_mad_u32 v6, v4, s14, v6
.LBB1_18:
	s_delay_alu instid0(VALU_DEP_1)
	v_add_nc_u32_e32 v7, 1, v6
	s_mov_b64 s[4:5], 0xcd9e8d57
	s_wait_xcnt 0x0
	s_load_b64 s[0:1], s[0:1], 0x0
	s_bitcmp1_b32 s6, 0
	s_clause 0x1
	global_load_b64 v[8:9], v7, s[2:3] scale_offset
	global_load_b64 v[4:5], v6, s[2:3] scale_offset
	s_wait_xcnt 0x0
	v_mul_u64_e32 v[6:7], s[12:13], v[2:3]
	s_mov_b64 s[2:3], 0xd2511f53
	s_delay_alu instid0(VALU_DEP_1) | instskip(SKIP_1) | instid1(VALU_DEP_1)
	v_sub_nc_u64_e32 v[0:1], v[0:1], v[6:7]
	s_wait_loadcnt 0x1
	v_add_nc_u64_e32 v[6:7], v[8:9], v[0:1]
	s_wait_loadcnt 0x0
	v_dual_mov_b32 v9, 0 :: v_dual_add_nc_u32 v18, 0x1fd5c5a3, v5
	v_add_nc_u32_e32 v19, 0xdb3d7428, v5
	s_delay_alu instid0(VALU_DEP_2) | instskip(NEXT) | instid1(VALU_DEP_4)
	v_dual_mov_b32 v13, v9 :: v_dual_mov_b32 v8, v6
	v_xor_b32_e32 v12, v7, v4
	v_add_nc_u32_e32 v7, 0x9e3779b9, v4
	v_mul_lo_u32 v6, 0xd2511f53, v6
	s_delay_alu instid0(VALU_DEP_4) | instskip(NEXT) | instid1(VALU_DEP_4)
	v_mul_u64_e32 v[10:11], s[2:3], v[8:9]
	v_mul_u64_e32 v[14:15], s[2:3], v[12:13]
	v_add_nc_u32_e32 v13, 0xdaa66d2b, v4
	s_mov_b32 s3, 0
	s_delay_alu instid0(VALU_DEP_3) | instskip(NEXT) | instid1(VALU_DEP_1)
	v_xor_b32_e32 v8, v11, v5
	v_mul_u64_e32 v[10:11], s[4:5], v[8:9]
	v_mul_lo_u32 v9, 0xd2511f53, v12
	v_add_nc_u32_e32 v12, 0x76cf5d0a, v5
	v_mul_lo_u32 v8, 0xcd9e8d57, v8
	s_delay_alu instid0(VALU_DEP_4) | instskip(SKIP_1) | instid1(VALU_DEP_2)
	v_xor_b32_e32 v7, v7, v11
	v_add_nc_u32_e32 v11, 0xbb67ae85, v5
	v_mul_hi_u32 v10, 0xd2511f53, v7
	s_delay_alu instid0(VALU_DEP_2) | instskip(SKIP_2) | instid1(VALU_DEP_4)
	v_xor3_b32 v6, v6, v11, v15
	v_mul_lo_u32 v7, 0xd2511f53, v7
	v_add_nc_u32_e32 v15, 0x5384540f, v4
	v_xor3_b32 v9, v9, v12, v10
	s_delay_alu instid0(VALU_DEP_4) | instskip(SKIP_2) | instid1(VALU_DEP_4)
	v_mul_hi_u32 v10, 0xcd9e8d57, v6
	v_mul_lo_u32 v6, 0xcd9e8d57, v6
	v_add_nc_u32_e32 v12, 0x3c6ef372, v4
	v_mul_hi_u32 v11, 0xcd9e8d57, v9
	v_mul_lo_u32 v9, 0xcd9e8d57, v9
	s_delay_alu instid0(VALU_DEP_3) | instskip(SKIP_1) | instid1(VALU_DEP_4)
	v_xor3_b32 v8, v8, v12, v10
	v_add_nc_u32_e32 v12, 0x32370b8f, v5
	v_xor3_b32 v6, v6, v13, v11
	s_delay_alu instid0(VALU_DEP_3) | instskip(SKIP_2) | instid1(VALU_DEP_4)
	v_mul_hi_u32 v10, 0xd2511f53, v8
	v_mul_lo_u32 v8, 0xd2511f53, v8
	v_add_nc_u32_e32 v13, 0xed9eba14, v5
	v_mul_hi_u32 v11, 0xd2511f53, v6
	v_mul_lo_u32 v6, 0xd2511f53, v6
	v_xor3_b32 v7, v7, v12, v10
	v_add_nc_u32_e32 v12, 0x78dde6e4, v4
	s_delay_alu instid0(VALU_DEP_4) | instskip(NEXT) | instid1(VALU_DEP_3)
	v_xor3_b32 v8, v8, v13, v11
	v_mul_hi_u32 v10, 0xcd9e8d57, v7
	v_mul_lo_u32 v7, 0xcd9e8d57, v7
	v_add_nc_u32_e32 v13, 0x1715609d, v4
	s_delay_alu instid0(VALU_DEP_4) | instskip(NEXT) | instid1(VALU_DEP_4)
	v_mul_hi_u32 v11, 0xcd9e8d57, v8
	v_xor3_b32 v9, v9, v12, v10
	v_add_nc_u32_e32 v12, 0x646e171e, v5
	s_delay_alu instid0(VALU_DEP_3) | instskip(NEXT) | instid1(VALU_DEP_3)
	v_xor3_b32 v14, v7, v13, v11
	v_mul_hi_u32 v7, 0xd2511f53, v9
	v_mul_lo_u32 v9, 0xd2511f53, v9
	v_add_nc_u32_e32 v11, 0xa9066899, v5
	v_add_nc_u32_e32 v13, 0xb54cda56, v4
	v_mul_hi_u32 v10, 0xd2511f53, v14
	v_mul_lo_u32 v14, 0xd2511f53, v14
	s_delay_alu instid0(VALU_DEP_4) | instskip(SKIP_1) | instid1(VALU_DEP_4)
	v_xor3_b32 v6, v6, v11, v7
	v_mul_lo_u32 v7, 0xcd9e8d57, v8
	v_xor3_b32 v12, v9, v12, v10
	s_delay_alu instid0(VALU_DEP_3) | instskip(SKIP_2) | instid1(VALU_DEP_4)
	v_mul_hi_u32 v8, 0xcd9e8d57, v6
	v_mul_lo_u32 v6, 0xcd9e8d57, v6
	v_lshlrev_b64_e32 v[10:11], 1, v[0:1]
	v_mul_hi_u32 v9, 0xcd9e8d57, v12
	s_delay_alu instid0(VALU_DEP_4) | instskip(NEXT) | instid1(VALU_DEP_2)
	v_xor3_b32 v8, v7, v13, v8
	v_xor3_b32 v13, v6, v15, v9
	s_delay_alu instid0(VALU_DEP_4) | instskip(NEXT) | instid1(VALU_DEP_3)
	v_mad_nc_u64_u32 v[6:7], v2, s6, v[10:11]
	v_mul_lo_u32 v15, 0xd2511f53, v8
	v_mul_hi_u32 v16, 0xd2511f53, v8
	s_wait_kmcnt 0x0
	v_add_f64_e64 v[8:9], s[10:11], -s[8:9]
	v_mul_hi_u32 v17, 0xd2511f53, v13
	s_cselect_b32 s10, -1, 0
	s_lshr_b32 s2, s7, 31
	s_delay_alu instid0(SALU_CYCLE_1) | instskip(NEXT) | instid1(SALU_CYCLE_1)
	s_add_nc_u64 s[4:5], s[6:7], s[2:3]
	s_ashr_i64 s[4:5], s[4:5], 1
	v_mad_u32 v7, v3, s6, v7
	v_cmp_le_i64_e32 vcc_lo, s[4:5], v[0:1]
	v_xor3_b32 v3, v14, v18, v16
	s_delay_alu instid0(VALU_DEP_4) | instskip(NEXT) | instid1(VALU_DEP_2)
	v_xor3_b32 v14, v15, v19, v17
	v_mul_lo_u32 v15, 0xcd9e8d57, v3
	s_or_b32 s2, s10, vcc_lo
	s_delay_alu instid0(VALU_DEP_2) | instskip(SKIP_3) | instid1(VALU_DEP_1)
	v_mul_hi_u32 v16, 0xcd9e8d57, v14
	v_mul_lo_u32 v14, 0xcd9e8d57, v14
	v_mad_u32 v7, v2, s7, v7
	v_add_nc_u32_e32 v2, 0x8ff34781, v4
	v_xor3_b32 v0, v15, v2, v16
	s_and_saveexec_b32 s4, s2
	s_delay_alu instid0(SALU_CYCLE_1)
	s_xor_b32 s2, exec_lo, s4
	s_cbranch_execnz .LBB1_23
; %bb.19:
	s_and_not1_saveexec_b32 s2, s2
	s_cbranch_execnz .LBB1_26
.LBB1_20:
	s_or_b32 exec_lo, exec_lo, s2
	s_delay_alu instid0(SALU_CYCLE_1)
	s_and_b32 exec_lo, exec_lo, s3
	s_cbranch_execz .LBB1_22
.LBB1_21:
	v_mul_lo_u32 v0, 0xcd9e8d57, v12
	v_mul_hi_u32 v1, 0xcd9e8d57, v3
	v_add_nc_u32_e32 v2, 0xf1bbcdc8, v4
	v_mul_lo_u32 v3, 0x111f53, v13
	s_delay_alu instid0(VALU_DEP_2) | instskip(SKIP_1) | instid1(VALU_DEP_2)
	v_xor3_b32 v2, v0, v2, v1
	v_add_nc_u32_e32 v1, 0x522ad, v5
	v_mul_hi_u32 v0, 0xd2511f53, v2
	s_delay_alu instid0(VALU_DEP_2) | instskip(SKIP_1) | instid1(VALU_DEP_2)
	v_xor_b32_e32 v1, v3, v1
	v_mul_lo_u32 v2, 0xd2511f53, v2
	v_bitop3_b32 v0, v1, 0x1fffff, v0 bitop3:0x48
	s_delay_alu instid0(VALU_DEP_2) | instskip(NEXT) | instid1(VALU_DEP_2)
	v_cvt_f64_u32_e32 v[2:3], v2
	v_cvt_f64_u32_e32 v[0:1], v0
	s_delay_alu instid0(VALU_DEP_1) | instskip(NEXT) | instid1(VALU_DEP_1)
	v_ldexp_f64 v[0:1], v[0:1], 32
	v_add_f64_e32 v[0:1], v[0:1], v[2:3]
	v_lshl_add_u64 v[2:3], v[6:7], 3, s[0:1]
	s_delay_alu instid0(VALU_DEP_2) | instskip(NEXT) | instid1(VALU_DEP_1)
	v_ldexp_f64 v[0:1], v[0:1], 0xffffffcb
	v_fma_f64 v[0:1], v[8:9], v[0:1], s[8:9]
	global_store_b64 v[2:3], v[0:1], off offset:8
.LBB1_22:
	s_endpgm
.LBB1_23:
	s_mov_b32 s4, 0
	s_mov_b32 s3, exec_lo
	v_cmpx_gt_i64_e64 s[6:7], v[10:11]
	s_cbranch_execz .LBB1_25
; %bb.24:
	v_and_b32_e32 v0, 0x1fffff, v0
	v_cvt_f64_u32_e32 v[14:15], v14
	v_or_b32_e32 v10, 1, v10
	s_delay_alu instid0(VALU_DEP_3) | instskip(NEXT) | instid1(VALU_DEP_2)
	v_cvt_f64_u32_e32 v[0:1], v0
	v_cmp_gt_u64_e32 vcc_lo, s[6:7], v[10:11]
	v_lshl_add_u64 v[10:11], v[6:7], 3, s[0:1]
	s_and_b32 s4, vcc_lo, exec_lo
	s_delay_alu instid0(VALU_DEP_3) | instskip(NEXT) | instid1(VALU_DEP_1)
	v_ldexp_f64 v[0:1], v[0:1], 32
	v_add_f64_e32 v[0:1], v[0:1], v[14:15]
	s_delay_alu instid0(VALU_DEP_1) | instskip(NEXT) | instid1(VALU_DEP_1)
	v_ldexp_f64 v[0:1], v[0:1], 0xffffffcb
	v_fma_f64 v[0:1], v[8:9], v[0:1], s[8:9]
	global_store_b64 v[10:11], v[0:1], off
.LBB1_25:
	s_wait_xcnt 0x0
	s_or_b32 exec_lo, exec_lo, s3
	s_delay_alu instid0(SALU_CYCLE_1)
	s_and_b32 s3, s4, exec_lo
                                        ; implicit-def: $vgpr0
                                        ; implicit-def: $vgpr14
	s_and_not1_saveexec_b32 s2, s2
	s_cbranch_execz .LBB1_20
.LBB1_26:
	v_and_b32_e32 v0, 0x1fffff, v0
	v_cvt_f64_u32_e32 v[10:11], v14
	s_or_b32 s3, s3, exec_lo
	s_delay_alu instid0(VALU_DEP_2) | instskip(NEXT) | instid1(VALU_DEP_1)
	v_cvt_f64_u32_e32 v[0:1], v0
	v_ldexp_f64 v[0:1], v[0:1], 32
	s_delay_alu instid0(VALU_DEP_1) | instskip(SKIP_1) | instid1(VALU_DEP_2)
	v_add_f64_e32 v[0:1], v[0:1], v[10:11]
	v_lshl_add_u64 v[10:11], v[6:7], 3, s[0:1]
	v_ldexp_f64 v[0:1], v[0:1], 0xffffffcb
	s_delay_alu instid0(VALU_DEP_1) | instskip(SKIP_3) | instid1(SALU_CYCLE_1)
	v_fma_f64 v[0:1], v[8:9], v[0:1], s[8:9]
	global_store_b64 v[10:11], v[0:1], off
	s_wait_xcnt 0x0
	s_or_b32 exec_lo, exec_lo, s2
	s_and_b32 exec_lo, exec_lo, s3
	s_cbranch_execnz .LBB1_21
	s_branch .LBB1_22
	.section	.rodata,"a",@progbits
	.p2align	6, 0x0
	.amdhsa_kernel _ZN2at6native12_GLOBAL__N_123philox_multi_key_kernelIdZZZZNS0_21_philox_uniform_cuda_ERNS_6TensorERKS3_ddENKUlvE_clEvENKUlvE_clEvENKUlvE_clEvEUlmmE_ZZZNS0_21_philox_uniform_cuda_ES4_S6_ddENKS7_clEvENKS8_clEvEUlT_E_EEvPSB_PKmllT0_T1_16OffsetCalculatorILi1EjLb0EE
		.amdhsa_group_segment_fixed_size 0
		.amdhsa_private_segment_fixed_size 0
		.amdhsa_kernarg_size 576
		.amdhsa_user_sgpr_count 2
		.amdhsa_user_sgpr_dispatch_ptr 0
		.amdhsa_user_sgpr_queue_ptr 0
		.amdhsa_user_sgpr_kernarg_segment_ptr 1
		.amdhsa_user_sgpr_dispatch_id 0
		.amdhsa_user_sgpr_kernarg_preload_length 0
		.amdhsa_user_sgpr_kernarg_preload_offset 0
		.amdhsa_user_sgpr_private_segment_size 0
		.amdhsa_wavefront_size32 1
		.amdhsa_uses_dynamic_stack 0
		.amdhsa_enable_private_segment 0
		.amdhsa_system_sgpr_workgroup_id_x 1
		.amdhsa_system_sgpr_workgroup_id_y 0
		.amdhsa_system_sgpr_workgroup_id_z 0
		.amdhsa_system_sgpr_workgroup_info 0
		.amdhsa_system_vgpr_workitem_id 0
		.amdhsa_next_free_vgpr 20
		.amdhsa_next_free_sgpr 40
		.amdhsa_named_barrier_count 0
		.amdhsa_reserve_vcc 1
		.amdhsa_float_round_mode_32 0
		.amdhsa_float_round_mode_16_64 0
		.amdhsa_float_denorm_mode_32 3
		.amdhsa_float_denorm_mode_16_64 3
		.amdhsa_fp16_overflow 0
		.amdhsa_memory_ordered 1
		.amdhsa_forward_progress 1
		.amdhsa_inst_pref_size 23
		.amdhsa_round_robin_scheduling 0
		.amdhsa_exception_fp_ieee_invalid_op 0
		.amdhsa_exception_fp_denorm_src 0
		.amdhsa_exception_fp_ieee_div_zero 0
		.amdhsa_exception_fp_ieee_overflow 0
		.amdhsa_exception_fp_ieee_underflow 0
		.amdhsa_exception_fp_ieee_inexact 0
		.amdhsa_exception_int_div_zero 0
	.end_amdhsa_kernel
	.section	.text._ZN2at6native12_GLOBAL__N_123philox_multi_key_kernelIdZZZZNS0_21_philox_uniform_cuda_ERNS_6TensorERKS3_ddENKUlvE_clEvENKUlvE_clEvENKUlvE_clEvEUlmmE_ZZZNS0_21_philox_uniform_cuda_ES4_S6_ddENKS7_clEvENKS8_clEvEUlT_E_EEvPSB_PKmllT0_T1_16OffsetCalculatorILi1EjLb0EE,"axG",@progbits,_ZN2at6native12_GLOBAL__N_123philox_multi_key_kernelIdZZZZNS0_21_philox_uniform_cuda_ERNS_6TensorERKS3_ddENKUlvE_clEvENKUlvE_clEvENKUlvE_clEvEUlmmE_ZZZNS0_21_philox_uniform_cuda_ES4_S6_ddENKS7_clEvENKS8_clEvEUlT_E_EEvPSB_PKmllT0_T1_16OffsetCalculatorILi1EjLb0EE,comdat
.Lfunc_end1:
	.size	_ZN2at6native12_GLOBAL__N_123philox_multi_key_kernelIdZZZZNS0_21_philox_uniform_cuda_ERNS_6TensorERKS3_ddENKUlvE_clEvENKUlvE_clEvENKUlvE_clEvEUlmmE_ZZZNS0_21_philox_uniform_cuda_ES4_S6_ddENKS7_clEvENKS8_clEvEUlT_E_EEvPSB_PKmllT0_T1_16OffsetCalculatorILi1EjLb0EE, .Lfunc_end1-_ZN2at6native12_GLOBAL__N_123philox_multi_key_kernelIdZZZZNS0_21_philox_uniform_cuda_ERNS_6TensorERKS3_ddENKUlvE_clEvENKUlvE_clEvENKUlvE_clEvEUlmmE_ZZZNS0_21_philox_uniform_cuda_ES4_S6_ddENKS7_clEvENKS8_clEvEUlT_E_EEvPSB_PKmllT0_T1_16OffsetCalculatorILi1EjLb0EE
                                        ; -- End function
	.set _ZN2at6native12_GLOBAL__N_123philox_multi_key_kernelIdZZZZNS0_21_philox_uniform_cuda_ERNS_6TensorERKS3_ddENKUlvE_clEvENKUlvE_clEvENKUlvE_clEvEUlmmE_ZZZNS0_21_philox_uniform_cuda_ES4_S6_ddENKS7_clEvENKS8_clEvEUlT_E_EEvPSB_PKmllT0_T1_16OffsetCalculatorILi1EjLb0EE.num_vgpr, 20
	.set _ZN2at6native12_GLOBAL__N_123philox_multi_key_kernelIdZZZZNS0_21_philox_uniform_cuda_ERNS_6TensorERKS3_ddENKUlvE_clEvENKUlvE_clEvENKUlvE_clEvEUlmmE_ZZZNS0_21_philox_uniform_cuda_ES4_S6_ddENKS7_clEvENKS8_clEvEUlT_E_EEvPSB_PKmllT0_T1_16OffsetCalculatorILi1EjLb0EE.num_agpr, 0
	.set _ZN2at6native12_GLOBAL__N_123philox_multi_key_kernelIdZZZZNS0_21_philox_uniform_cuda_ERNS_6TensorERKS3_ddENKUlvE_clEvENKUlvE_clEvENKUlvE_clEvEUlmmE_ZZZNS0_21_philox_uniform_cuda_ES4_S6_ddENKS7_clEvENKS8_clEvEUlT_E_EEvPSB_PKmllT0_T1_16OffsetCalculatorILi1EjLb0EE.numbered_sgpr, 40
	.set _ZN2at6native12_GLOBAL__N_123philox_multi_key_kernelIdZZZZNS0_21_philox_uniform_cuda_ERNS_6TensorERKS3_ddENKUlvE_clEvENKUlvE_clEvENKUlvE_clEvEUlmmE_ZZZNS0_21_philox_uniform_cuda_ES4_S6_ddENKS7_clEvENKS8_clEvEUlT_E_EEvPSB_PKmllT0_T1_16OffsetCalculatorILi1EjLb0EE.num_named_barrier, 0
	.set _ZN2at6native12_GLOBAL__N_123philox_multi_key_kernelIdZZZZNS0_21_philox_uniform_cuda_ERNS_6TensorERKS3_ddENKUlvE_clEvENKUlvE_clEvENKUlvE_clEvEUlmmE_ZZZNS0_21_philox_uniform_cuda_ES4_S6_ddENKS7_clEvENKS8_clEvEUlT_E_EEvPSB_PKmllT0_T1_16OffsetCalculatorILi1EjLb0EE.private_seg_size, 0
	.set _ZN2at6native12_GLOBAL__N_123philox_multi_key_kernelIdZZZZNS0_21_philox_uniform_cuda_ERNS_6TensorERKS3_ddENKUlvE_clEvENKUlvE_clEvENKUlvE_clEvEUlmmE_ZZZNS0_21_philox_uniform_cuda_ES4_S6_ddENKS7_clEvENKS8_clEvEUlT_E_EEvPSB_PKmllT0_T1_16OffsetCalculatorILi1EjLb0EE.uses_vcc, 1
	.set _ZN2at6native12_GLOBAL__N_123philox_multi_key_kernelIdZZZZNS0_21_philox_uniform_cuda_ERNS_6TensorERKS3_ddENKUlvE_clEvENKUlvE_clEvENKUlvE_clEvEUlmmE_ZZZNS0_21_philox_uniform_cuda_ES4_S6_ddENKS7_clEvENKS8_clEvEUlT_E_EEvPSB_PKmllT0_T1_16OffsetCalculatorILi1EjLb0EE.uses_flat_scratch, 0
	.set _ZN2at6native12_GLOBAL__N_123philox_multi_key_kernelIdZZZZNS0_21_philox_uniform_cuda_ERNS_6TensorERKS3_ddENKUlvE_clEvENKUlvE_clEvENKUlvE_clEvEUlmmE_ZZZNS0_21_philox_uniform_cuda_ES4_S6_ddENKS7_clEvENKS8_clEvEUlT_E_EEvPSB_PKmllT0_T1_16OffsetCalculatorILi1EjLb0EE.has_dyn_sized_stack, 0
	.set _ZN2at6native12_GLOBAL__N_123philox_multi_key_kernelIdZZZZNS0_21_philox_uniform_cuda_ERNS_6TensorERKS3_ddENKUlvE_clEvENKUlvE_clEvENKUlvE_clEvEUlmmE_ZZZNS0_21_philox_uniform_cuda_ES4_S6_ddENKS7_clEvENKS8_clEvEUlT_E_EEvPSB_PKmllT0_T1_16OffsetCalculatorILi1EjLb0EE.has_recursion, 0
	.set _ZN2at6native12_GLOBAL__N_123philox_multi_key_kernelIdZZZZNS0_21_philox_uniform_cuda_ERNS_6TensorERKS3_ddENKUlvE_clEvENKUlvE_clEvENKUlvE_clEvEUlmmE_ZZZNS0_21_philox_uniform_cuda_ES4_S6_ddENKS7_clEvENKS8_clEvEUlT_E_EEvPSB_PKmllT0_T1_16OffsetCalculatorILi1EjLb0EE.has_indirect_call, 0
	.section	.AMDGPU.csdata,"",@progbits
; Kernel info:
; codeLenInByte = 2940
; TotalNumSgprs: 42
; NumVgprs: 20
; ScratchSize: 0
; MemoryBound: 0
; FloatMode: 240
; IeeeMode: 1
; LDSByteSize: 0 bytes/workgroup (compile time only)
; SGPRBlocks: 0
; VGPRBlocks: 1
; NumSGPRsForWavesPerEU: 42
; NumVGPRsForWavesPerEU: 20
; NamedBarCnt: 0
; Occupancy: 16
; WaveLimiterHint : 1
; COMPUTE_PGM_RSRC2:SCRATCH_EN: 0
; COMPUTE_PGM_RSRC2:USER_SGPR: 2
; COMPUTE_PGM_RSRC2:TRAP_HANDLER: 0
; COMPUTE_PGM_RSRC2:TGID_X_EN: 1
; COMPUTE_PGM_RSRC2:TGID_Y_EN: 0
; COMPUTE_PGM_RSRC2:TGID_Z_EN: 0
; COMPUTE_PGM_RSRC2:TIDIG_COMP_CNT: 0
	.section	.text._ZN2at6native12_GLOBAL__N_124philox_single_key_kernelIfZZZZNS0_21_philox_uniform_cuda_ERNS_6TensorERKS3_ddENKUlvE_clEvENKUlvE0_clEvENKUlvE_clEvEUlmmE0_ZZZNS0_21_philox_uniform_cuda_ES4_S6_ddENKS7_clEvENKS8_clEvEUlT_E_EEvPSB_PKmlT0_T1_,"axG",@progbits,_ZN2at6native12_GLOBAL__N_124philox_single_key_kernelIfZZZZNS0_21_philox_uniform_cuda_ERNS_6TensorERKS3_ddENKUlvE_clEvENKUlvE0_clEvENKUlvE_clEvEUlmmE0_ZZZNS0_21_philox_uniform_cuda_ES4_S6_ddENKS7_clEvENKS8_clEvEUlT_E_EEvPSB_PKmlT0_T1_,comdat
	.globl	_ZN2at6native12_GLOBAL__N_124philox_single_key_kernelIfZZZZNS0_21_philox_uniform_cuda_ERNS_6TensorERKS3_ddENKUlvE_clEvENKUlvE0_clEvENKUlvE_clEvEUlmmE0_ZZZNS0_21_philox_uniform_cuda_ES4_S6_ddENKS7_clEvENKS8_clEvEUlT_E_EEvPSB_PKmlT0_T1_ ; -- Begin function _ZN2at6native12_GLOBAL__N_124philox_single_key_kernelIfZZZZNS0_21_philox_uniform_cuda_ERNS_6TensorERKS3_ddENKUlvE_clEvENKUlvE0_clEvENKUlvE_clEvEUlmmE0_ZZZNS0_21_philox_uniform_cuda_ES4_S6_ddENKS7_clEvENKS8_clEvEUlT_E_EEvPSB_PKmlT0_T1_
	.p2align	8
	.type	_ZN2at6native12_GLOBAL__N_124philox_single_key_kernelIfZZZZNS0_21_philox_uniform_cuda_ERNS_6TensorERKS3_ddENKUlvE_clEvENKUlvE0_clEvENKUlvE_clEvEUlmmE0_ZZZNS0_21_philox_uniform_cuda_ES4_S6_ddENKS7_clEvENKS8_clEvEUlT_E_EEvPSB_PKmlT0_T1_,@function
_ZN2at6native12_GLOBAL__N_124philox_single_key_kernelIfZZZZNS0_21_philox_uniform_cuda_ERNS_6TensorERKS3_ddENKUlvE_clEvENKUlvE0_clEvENKUlvE_clEvEUlmmE0_ZZZNS0_21_philox_uniform_cuda_ES4_S6_ddENKS7_clEvENKS8_clEvEUlT_E_EEvPSB_PKmlT0_T1_: ; @_ZN2at6native12_GLOBAL__N_124philox_single_key_kernelIfZZZZNS0_21_philox_uniform_cuda_ERNS_6TensorERKS3_ddENKUlvE_clEvENKUlvE0_clEvENKUlvE_clEvEUlmmE0_ZZZNS0_21_philox_uniform_cuda_ES4_S6_ddENKS7_clEvENKS8_clEvEUlT_E_EEvPSB_PKmlT0_T1_
; %bb.0:
	s_clause 0x3
	s_load_b64 s[14:15], s[2:3], 0x10
	s_load_b32 s8, s[2:3], 0x34
	s_load_b128 s[4:7], s[2:3], 0x0
	s_load_b64 s[12:13], s[2:3], 0x1c
	s_wait_xcnt 0x0
	s_bfe_u32 s2, ttmp6, 0x4000c
	s_mov_b32 s3, 0
	s_add_co_i32 s2, s2, 1
	s_and_b32 s9, ttmp6, 15
	s_mul_i32 s16, ttmp9, s2
	s_getreg_b32 s10, hwreg(HW_REG_IB_STS2, 6, 4)
	s_add_co_i32 s16, s9, s16
	v_mov_b32_e32 v3, 0
	v_and_b32_e32 v2, 0x3ff, v0
	s_wait_kmcnt 0x0
	s_ashr_i32 s11, s15, 31
	s_and_b32 s17, s8, 0xffff
	s_lshr_b32 s2, s11, 30
	s_delay_alu instid0(SALU_CYCLE_1) | instskip(NEXT) | instid1(SALU_CYCLE_1)
	s_add_nc_u64 s[2:3], s[14:15], s[2:3]
	s_ashr_i64 s[2:3], s[2:3], 2
	s_cmp_eq_u32 s10, 0
	s_load_b128 s[8:11], s[6:7], 0x0
	s_wait_xcnt 0x0
	s_cselect_b32 s6, ttmp9, s16
	s_delay_alu instid0(SALU_CYCLE_1) | instskip(SKIP_1) | instid1(VALU_DEP_1)
	v_mad_nc_u64_u32 v[4:5], s17, s6, v[2:3]
	s_mov_b32 s6, exec_lo
	v_cmpx_gt_i64_e64 s[2:3], v[4:5]
	s_cbranch_execz .LBB2_2
; %bb.1:
	s_wait_kmcnt 0x0
	v_add_nc_u64_e32 v[6:7], s[10:11], v[4:5]
	v_mov_b32_e32 v9, v3
	s_mov_b64 s[16:17], 0xd2511f53
	v_mov_b32_e32 v11, v3
	s_add_co_i32 s7, s9, 0xbb67ae85
	s_delay_alu instid0(VALU_DEP_3) | instskip(SKIP_1) | instid1(VALU_DEP_2)
	v_dual_mov_b32 v8, v6 :: v_dual_bitop2_b32 v10, s8, v7 bitop3:0x14
	v_mul_lo_u32 v1, 0xd2511f53, v6
	v_mul_u64_e32 v[8:9], s[16:17], v[8:9]
	s_delay_alu instid0(VALU_DEP_1) | instskip(NEXT) | instid1(VALU_DEP_4)
	v_dual_mov_b32 v13, v3 :: v_dual_bitop2_b32 v12, s9, v9 bitop3:0x14
	v_mul_u64_e32 v[8:9], s[16:17], v[10:11]
	s_mov_b64 s[16:17], 0xcd9e8d57
	v_mul_lo_u32 v8, 0xd2511f53, v10
	s_delay_alu instid0(VALU_DEP_3)
	v_mul_u64_e32 v[14:15], s[16:17], v[12:13]
	v_mul_lo_u32 v6, 0xcd9e8d57, v12
	s_add_co_i32 s16, s8, 0xdaa66d2b
	v_lshl_add_u64 v[12:13], v[4:5], 4, s[4:5]
	v_xor3_b32 v1, v1, s7, v9
	s_add_co_i32 s7, s8, 0x9e3779b9
	s_delay_alu instid0(VALU_DEP_4) | instid1(SALU_CYCLE_1)
	v_xor_b32_e32 v3, s7, v15
	s_delay_alu instid0(VALU_DEP_2) | instskip(SKIP_2) | instid1(VALU_DEP_3)
	v_mul_hi_u32 v7, 0xcd9e8d57, v1
	s_add_co_i32 s7, s8, 0x3c6ef372
	v_mul_lo_u32 v1, 0xcd9e8d57, v1
	v_mul_hi_u32 v9, 0xd2511f53, v3
	v_mul_lo_u32 v3, 0xd2511f53, v3
	s_delay_alu instid0(VALU_DEP_4)
	v_xor3_b32 v6, v6, s7, v7
	s_add_co_i32 s7, s9, 0x76cf5d0a
	s_delay_alu instid0(VALU_DEP_3) | instid1(SALU_CYCLE_1)
	v_xor3_b32 v7, v8, s7, v9
	s_delay_alu instid0(VALU_DEP_2) | instskip(SKIP_2) | instid1(VALU_DEP_3)
	v_mul_hi_u32 v8, 0xd2511f53, v6
	s_add_co_i32 s7, s9, 0x32370b8f
	v_mul_lo_u32 v6, 0xd2511f53, v6
	v_mul_hi_u32 v9, 0xcd9e8d57, v7
	v_mul_lo_u32 v7, 0xcd9e8d57, v7
	s_delay_alu instid0(VALU_DEP_4) | instskip(SKIP_1) | instid1(VALU_DEP_3)
	v_xor3_b32 v3, v3, s7, v8
	s_add_co_i32 s7, s8, 0x78dde6e4
	v_xor3_b32 v1, v1, s16, v9
	s_delay_alu instid0(VALU_DEP_2) | instskip(SKIP_2) | instid1(VALU_DEP_3)
	v_mul_hi_u32 v8, 0xcd9e8d57, v3
	s_add_co_i32 s16, s9, 0xed9eba14
	v_mul_lo_u32 v3, 0xcd9e8d57, v3
	v_mul_hi_u32 v9, 0xd2511f53, v1
	v_mul_lo_u32 v1, 0xd2511f53, v1
	s_delay_alu instid0(VALU_DEP_4) | instskip(SKIP_1) | instid1(VALU_DEP_3)
	v_xor3_b32 v7, v7, s7, v8
	s_add_co_i32 s7, s9, 0xa9066899
	;; [unrolled: 10-line block ×6, first 2 shown]
	v_xor3_b32 v6, v6, s16, v9
	s_delay_alu instid0(VALU_DEP_2) | instskip(SKIP_2) | instid1(VALU_DEP_3)
	v_mul_hi_u32 v8, 0xd2511f53, v7
	v_mul_lo_u32 v7, 0x511f53, v7
	s_add_co_i32 s16, s8, 0xf34781
	v_mul_hi_u32 v9, 0xcd9e8d57, v6
	v_mul_lo_u32 v6, 0x9e8d57, v6
	s_delay_alu instid0(VALU_DEP_4) | instskip(NEXT) | instid1(VALU_DEP_4)
	v_xor3_b32 v1, v1, s7, v8
	v_and_b32_e32 v7, 0xffffff, v7
	s_delay_alu instid0(VALU_DEP_4) | instskip(NEXT) | instid1(VALU_DEP_3)
	v_xor3_b32 v3, v3, s16, v9
	v_and_b32_e32 v1, 0xffffff, v1
	v_and_b32_e32 v8, 0xffffff, v6
	s_delay_alu instid0(VALU_DEP_4) | instskip(SKIP_4) | instid1(VALU_DEP_3)
	v_cvt_f32_u32_e32 v7, v7
	s_mov_b32 s16, 0x33800000
	v_and_b32_e32 v3, 0xffffff, v3
	v_cvt_f32_u32_e32 v6, v1
	v_cvt_f32_u32_e32 v9, v8
	;; [unrolled: 1-line block ×3, first 2 shown]
	s_delay_alu instid0(VALU_DEP_3) | instskip(NEXT) | instid1(VALU_DEP_2)
	v_pk_mul_f32 v[10:11], v[6:7], s[16:17] op_sel_hi:[1,0]
	v_pk_mul_f32 v[6:7], v[8:9], s[16:17] op_sel_hi:[1,0]
	s_sub_f32 s16, s13, s12
	s_delay_alu instid0(VALU_DEP_2) | instid1(SALU_CYCLE_3)
	v_pk_fma_f32 v[8:9], s[16:17], v[10:11], s[12:13] op_sel_hi:[0,1,0]
	s_delay_alu instid0(VALU_DEP_2)
	v_pk_fma_f32 v[6:7], s[16:17], v[6:7], s[12:13] op_sel_hi:[0,1,0]
	global_store_b128 v[12:13], v[6:9], off
.LBB2_2:
	s_wait_xcnt 0x0
	s_or_b32 exec_lo, exec_lo, s6
	s_delay_alu instid0(SALU_CYCLE_1)
	s_mov_b32 s6, exec_lo
	v_cmpx_eq_u64_e64 s[2:3], v[4:5]
	s_cbranch_execz .LBB2_11
; %bb.3:
	s_load_b64 s[6:7], s[0:1], 0x4
	s_wait_kmcnt 0x0
	s_add_nc_u64 s[10:11], s[10:11], s[2:3]
	s_mov_b64 s[16:17], 0xffffffff
	s_mov_b64 s[18:19], 0xd2511f53
	s_and_b64 s[16:17], s[10:11], s[16:17]
	s_mov_b32 s21, 0
	s_mul_u64 s[16:17], s[16:17], s[18:19]
	v_bfe_u32 v1, v0, 10, 10
	s_add_co_i32 s20, s9, 0xbb67ae85
	s_mul_i32 s28, s10, 0xd2511f53
	s_xor_b32 s10, s11, s8
	s_mov_b32 s11, s21
	s_xor_b64 s[16:17], s[16:17], s[8:9]
	s_mov_b64 s[22:23], 0xcd9e8d57
	s_mul_i32 s29, s10, 0xd2511f53
	s_mul_u64 s[10:11], s[10:11], s[18:19]
	s_add_co_i32 s25, s8, 0x9e3779b9
	s_add_co_i32 s26, s8, 0x3c6ef372
	;; [unrolled: 1-line block ×3, first 2 shown]
	v_bfe_u32 v0, v0, 20, 10
	s_lshr_b32 s6, s6, 16
	v_mul_u32_u24_e32 v1, s7, v1
	s_mul_i32 s6, s6, s7
	s_add_co_i32 s24, s8, 0x8ff34781
	v_mul_lo_u32 v2, s6, v2
	s_xor_b32 s6, s28, s20
	s_mov_b32 s20, s17
	s_xor_b32 s10, s6, s11
	s_mul_u64 s[6:7], s[20:21], s[22:23]
	s_mul_i32 s11, s17, 0xcd9e8d57
	s_xor_b32 s6, s25, s7
	s_mul_i32 s16, s10, 0xcd9e8d57
	s_mul_hi_u32 s7, s10, 0xcd9e8d57
	s_mul_i32 s10, s6, 0xd2511f53
	s_mul_hi_u32 s6, s6, 0xd2511f53
	s_xor_b32 s11, s11, s26
	s_xor_b32 s17, s29, s27
	s_xor_b32 s7, s11, s7
	s_xor_b32 s6, s17, s6
	s_add_co_i32 s11, s8, 0xdaa66d2b
	s_add_co_i32 s17, s9, 0x32370b8f
	s_mul_i32 s18, s7, 0xd2511f53
	s_mul_hi_u32 s7, s7, 0xd2511f53
	s_mul_i32 s19, s6, 0xcd9e8d57
	s_mul_hi_u32 s6, s6, 0xcd9e8d57
	s_xor_b32 s11, s16, s11
	s_xor_b32 s10, s10, s17
	s_xor_b32 s6, s11, s6
	s_xor_b32 s7, s10, s7
	s_add_co_i32 s10, s8, 0x78dde6e4
	s_add_co_i32 s11, s9, 0xed9eba14
	;; [unrolled: 10-line block ×6, first 2 shown]
	s_mul_i32 s11, s6, 0xd2511f53
	s_mul_hi_u32 s6, s6, 0xd2511f53
	s_mul_i32 s16, s7, 0xcd9e8d57
	s_mul_hi_u32 s7, s7, 0xcd9e8d57
	s_xor_b32 s8, s19, s8
	s_xor_b32 s10, s18, s10
	;; [unrolled: 1-line block ×4, first 2 shown]
	s_add_co_i32 s8, s9, 0x96a522ad
	v_add3_u32 v4, v2, v1, v0
	s_lshl_b64 s[0:1], s[2:3], 2
	s_mul_i32 s9, s7, 0xd2511f53
	s_mul_hi_u32 s7, s7, 0xd2511f53
	s_mul_i32 s10, s6, 0xcd9e8d57
	s_mul_hi_u32 s6, s6, 0xcd9e8d57
	s_xor_b32 s16, s16, s24
	s_xor_b32 s8, s11, s8
	;; [unrolled: 1-line block ×4, first 2 shown]
	s_sub_nc_u64 s[6:7], s[14:15], s[0:1]
	v_dual_mov_b32 v0, s11 :: v_dual_lshlrev_b32 v5, 4, v4
	v_cmp_lt_i64_e64 s11, s[6:7], 1
	v_dual_mov_b32 v1, s10 :: v_dual_mov_b32 v2, s8
	v_mov_b32_e32 v3, s9
	s_and_b32 vcc_lo, exec_lo, s11
	ds_store_b128 v5, v[0:3]
	s_cbranch_vccnz .LBB2_11
; %bb.4:
	s_sub_f32 s8, s13, s12
	s_cmp_eq_u64 s[6:7], 1
	s_cbranch_scc1 .LBB2_8
; %bb.5:
	s_delay_alu instid0(SALU_CYCLE_1)
	s_mov_b32 s9, s8
	s_mov_b32 s13, s12
	v_mov_b64_e32 v[0:1], s[8:9]
	v_mov_b64_e32 v[2:3], s[12:13]
	s_lshl_b64 s[0:1], s[0:1], 2
	s_and_b64 s[10:11], s[14:15], 1
	v_mov_b32_e32 v6, 0
	s_add_nc_u64 s[14:15], s[4:5], s[0:1]
	s_sub_nc_u64 s[0:1], s[6:7], s[10:11]
	s_mov_b32 s16, 0x33800000
	s_mov_b64 s[18:19], s[0:1]
.LBB2_6:                                ; =>This Inner Loop Header: Depth=1
	ds_load_b64 v[8:9], v5
	v_add_nc_u32_e32 v5, 8, v5
	s_add_nc_u64 s[18:19], s[18:19], -2
	s_delay_alu instid0(SALU_CYCLE_1) | instskip(SKIP_3) | instid1(VALU_DEP_2)
	s_cmp_lg_u64 s[18:19], 0
	s_wait_dscnt 0x0
	v_and_b32_e32 v7, 0xffffff, v9
	v_and_b32_e32 v8, 0xffffff, v8
	v_cvt_f32_u32_e32 v9, v7
	s_delay_alu instid0(VALU_DEP_2) | instskip(NEXT) | instid1(VALU_DEP_1)
	v_cvt_f32_u32_e32 v8, v8
	v_pk_mul_f32 v[8:9], v[8:9], s[16:17] op_sel_hi:[1,0]
	s_delay_alu instid0(VALU_DEP_1)
	v_pk_fma_f32 v[8:9], v[0:1], v[8:9], v[2:3]
	global_store_b64 v6, v[8:9], s[14:15]
	s_wait_xcnt 0x0
	s_add_nc_u64 s[14:15], s[14:15], 8
	s_cbranch_scc1 .LBB2_6
; %bb.7:
	s_cmp_lg_u64 s[10:11], 0
	s_cselect_b32 s9, -1, 0
	s_delay_alu instid0(SALU_CYCLE_1)
	s_and_b32 vcc_lo, exec_lo, s9
	s_cbranch_vccnz .LBB2_9
	s_branch .LBB2_11
.LBB2_8:
	s_mov_b64 s[0:1], 0
	s_cbranch_execz .LBB2_11
.LBB2_9:
	v_dual_mov_b32 v1, 0 :: v_dual_lshlrev_b32 v0, 4, v4
	s_lshl_b64 s[2:3], s[2:3], 4
	s_lshl_b64 s[10:11], s[0:1], 2
	s_delay_alu instid0(SALU_CYCLE_1) | instskip(NEXT) | instid1(VALU_DEP_1)
	s_add_nc_u64 s[2:3], s[2:3], s[10:11]
	v_lshl_add_u32 v0, s0, 2, v0
	s_add_nc_u64 s[2:3], s[4:5], s[2:3]
.LBB2_10:                               ; =>This Inner Loop Header: Depth=1
	ds_load_b32 v2, v0
	s_add_nc_u64 s[0:1], s[0:1], 1
	v_add_nc_u32_e32 v0, 4, v0
	v_cmp_gt_i64_e64 s4, s[6:7], s[0:1]
	s_and_b32 vcc_lo, exec_lo, s4
	s_wait_dscnt 0x0
	v_and_b32_e32 v2, 0xffffff, v2
	s_delay_alu instid0(VALU_DEP_1) | instskip(NEXT) | instid1(VALU_DEP_1)
	v_cvt_f32_u32_e32 v2, v2
	v_mul_f32_e32 v2, 0x33800000, v2
	s_delay_alu instid0(VALU_DEP_1)
	v_fma_f32 v2, s8, v2, s12
	global_store_b32 v1, v2, s[2:3]
	s_wait_xcnt 0x0
	s_add_nc_u64 s[2:3], s[2:3], 4
	s_cbranch_vccnz .LBB2_10
.LBB2_11:
	s_endpgm
	.section	.rodata,"a",@progbits
	.p2align	6, 0x0
	.amdhsa_kernel _ZN2at6native12_GLOBAL__N_124philox_single_key_kernelIfZZZZNS0_21_philox_uniform_cuda_ERNS_6TensorERKS3_ddENKUlvE_clEvENKUlvE0_clEvENKUlvE_clEvEUlmmE0_ZZZNS0_21_philox_uniform_cuda_ES4_S6_ddENKS7_clEvENKS8_clEvEUlT_E_EEvPSB_PKmlT0_T1_
		.amdhsa_group_segment_fixed_size 16384
		.amdhsa_private_segment_fixed_size 0
		.amdhsa_kernarg_size 296
		.amdhsa_user_sgpr_count 4
		.amdhsa_user_sgpr_dispatch_ptr 1
		.amdhsa_user_sgpr_queue_ptr 0
		.amdhsa_user_sgpr_kernarg_segment_ptr 1
		.amdhsa_user_sgpr_dispatch_id 0
		.amdhsa_user_sgpr_kernarg_preload_length 0
		.amdhsa_user_sgpr_kernarg_preload_offset 0
		.amdhsa_user_sgpr_private_segment_size 0
		.amdhsa_wavefront_size32 1
		.amdhsa_uses_dynamic_stack 0
		.amdhsa_enable_private_segment 0
		.amdhsa_system_sgpr_workgroup_id_x 1
		.amdhsa_system_sgpr_workgroup_id_y 0
		.amdhsa_system_sgpr_workgroup_id_z 0
		.amdhsa_system_sgpr_workgroup_info 0
		.amdhsa_system_vgpr_workitem_id 2
		.amdhsa_next_free_vgpr 16
		.amdhsa_next_free_sgpr 30
		.amdhsa_named_barrier_count 0
		.amdhsa_reserve_vcc 1
		.amdhsa_float_round_mode_32 0
		.amdhsa_float_round_mode_16_64 0
		.amdhsa_float_denorm_mode_32 3
		.amdhsa_float_denorm_mode_16_64 3
		.amdhsa_fp16_overflow 0
		.amdhsa_memory_ordered 1
		.amdhsa_forward_progress 1
		.amdhsa_inst_pref_size 18
		.amdhsa_round_robin_scheduling 0
		.amdhsa_exception_fp_ieee_invalid_op 0
		.amdhsa_exception_fp_denorm_src 0
		.amdhsa_exception_fp_ieee_div_zero 0
		.amdhsa_exception_fp_ieee_overflow 0
		.amdhsa_exception_fp_ieee_underflow 0
		.amdhsa_exception_fp_ieee_inexact 0
		.amdhsa_exception_int_div_zero 0
	.end_amdhsa_kernel
	.section	.text._ZN2at6native12_GLOBAL__N_124philox_single_key_kernelIfZZZZNS0_21_philox_uniform_cuda_ERNS_6TensorERKS3_ddENKUlvE_clEvENKUlvE0_clEvENKUlvE_clEvEUlmmE0_ZZZNS0_21_philox_uniform_cuda_ES4_S6_ddENKS7_clEvENKS8_clEvEUlT_E_EEvPSB_PKmlT0_T1_,"axG",@progbits,_ZN2at6native12_GLOBAL__N_124philox_single_key_kernelIfZZZZNS0_21_philox_uniform_cuda_ERNS_6TensorERKS3_ddENKUlvE_clEvENKUlvE0_clEvENKUlvE_clEvEUlmmE0_ZZZNS0_21_philox_uniform_cuda_ES4_S6_ddENKS7_clEvENKS8_clEvEUlT_E_EEvPSB_PKmlT0_T1_,comdat
.Lfunc_end2:
	.size	_ZN2at6native12_GLOBAL__N_124philox_single_key_kernelIfZZZZNS0_21_philox_uniform_cuda_ERNS_6TensorERKS3_ddENKUlvE_clEvENKUlvE0_clEvENKUlvE_clEvEUlmmE0_ZZZNS0_21_philox_uniform_cuda_ES4_S6_ddENKS7_clEvENKS8_clEvEUlT_E_EEvPSB_PKmlT0_T1_, .Lfunc_end2-_ZN2at6native12_GLOBAL__N_124philox_single_key_kernelIfZZZZNS0_21_philox_uniform_cuda_ERNS_6TensorERKS3_ddENKUlvE_clEvENKUlvE0_clEvENKUlvE_clEvEUlmmE0_ZZZNS0_21_philox_uniform_cuda_ES4_S6_ddENKS7_clEvENKS8_clEvEUlT_E_EEvPSB_PKmlT0_T1_
                                        ; -- End function
	.set _ZN2at6native12_GLOBAL__N_124philox_single_key_kernelIfZZZZNS0_21_philox_uniform_cuda_ERNS_6TensorERKS3_ddENKUlvE_clEvENKUlvE0_clEvENKUlvE_clEvEUlmmE0_ZZZNS0_21_philox_uniform_cuda_ES4_S6_ddENKS7_clEvENKS8_clEvEUlT_E_EEvPSB_PKmlT0_T1_.num_vgpr, 16
	.set _ZN2at6native12_GLOBAL__N_124philox_single_key_kernelIfZZZZNS0_21_philox_uniform_cuda_ERNS_6TensorERKS3_ddENKUlvE_clEvENKUlvE0_clEvENKUlvE_clEvEUlmmE0_ZZZNS0_21_philox_uniform_cuda_ES4_S6_ddENKS7_clEvENKS8_clEvEUlT_E_EEvPSB_PKmlT0_T1_.num_agpr, 0
	.set _ZN2at6native12_GLOBAL__N_124philox_single_key_kernelIfZZZZNS0_21_philox_uniform_cuda_ERNS_6TensorERKS3_ddENKUlvE_clEvENKUlvE0_clEvENKUlvE_clEvEUlmmE0_ZZZNS0_21_philox_uniform_cuda_ES4_S6_ddENKS7_clEvENKS8_clEvEUlT_E_EEvPSB_PKmlT0_T1_.numbered_sgpr, 30
	.set _ZN2at6native12_GLOBAL__N_124philox_single_key_kernelIfZZZZNS0_21_philox_uniform_cuda_ERNS_6TensorERKS3_ddENKUlvE_clEvENKUlvE0_clEvENKUlvE_clEvEUlmmE0_ZZZNS0_21_philox_uniform_cuda_ES4_S6_ddENKS7_clEvENKS8_clEvEUlT_E_EEvPSB_PKmlT0_T1_.num_named_barrier, 0
	.set _ZN2at6native12_GLOBAL__N_124philox_single_key_kernelIfZZZZNS0_21_philox_uniform_cuda_ERNS_6TensorERKS3_ddENKUlvE_clEvENKUlvE0_clEvENKUlvE_clEvEUlmmE0_ZZZNS0_21_philox_uniform_cuda_ES4_S6_ddENKS7_clEvENKS8_clEvEUlT_E_EEvPSB_PKmlT0_T1_.private_seg_size, 0
	.set _ZN2at6native12_GLOBAL__N_124philox_single_key_kernelIfZZZZNS0_21_philox_uniform_cuda_ERNS_6TensorERKS3_ddENKUlvE_clEvENKUlvE0_clEvENKUlvE_clEvEUlmmE0_ZZZNS0_21_philox_uniform_cuda_ES4_S6_ddENKS7_clEvENKS8_clEvEUlT_E_EEvPSB_PKmlT0_T1_.uses_vcc, 1
	.set _ZN2at6native12_GLOBAL__N_124philox_single_key_kernelIfZZZZNS0_21_philox_uniform_cuda_ERNS_6TensorERKS3_ddENKUlvE_clEvENKUlvE0_clEvENKUlvE_clEvEUlmmE0_ZZZNS0_21_philox_uniform_cuda_ES4_S6_ddENKS7_clEvENKS8_clEvEUlT_E_EEvPSB_PKmlT0_T1_.uses_flat_scratch, 0
	.set _ZN2at6native12_GLOBAL__N_124philox_single_key_kernelIfZZZZNS0_21_philox_uniform_cuda_ERNS_6TensorERKS3_ddENKUlvE_clEvENKUlvE0_clEvENKUlvE_clEvEUlmmE0_ZZZNS0_21_philox_uniform_cuda_ES4_S6_ddENKS7_clEvENKS8_clEvEUlT_E_EEvPSB_PKmlT0_T1_.has_dyn_sized_stack, 0
	.set _ZN2at6native12_GLOBAL__N_124philox_single_key_kernelIfZZZZNS0_21_philox_uniform_cuda_ERNS_6TensorERKS3_ddENKUlvE_clEvENKUlvE0_clEvENKUlvE_clEvEUlmmE0_ZZZNS0_21_philox_uniform_cuda_ES4_S6_ddENKS7_clEvENKS8_clEvEUlT_E_EEvPSB_PKmlT0_T1_.has_recursion, 0
	.set _ZN2at6native12_GLOBAL__N_124philox_single_key_kernelIfZZZZNS0_21_philox_uniform_cuda_ERNS_6TensorERKS3_ddENKUlvE_clEvENKUlvE0_clEvENKUlvE_clEvEUlmmE0_ZZZNS0_21_philox_uniform_cuda_ES4_S6_ddENKS7_clEvENKS8_clEvEUlT_E_EEvPSB_PKmlT0_T1_.has_indirect_call, 0
	.section	.AMDGPU.csdata,"",@progbits
; Kernel info:
; codeLenInByte = 2244
; TotalNumSgprs: 32
; NumVgprs: 16
; ScratchSize: 0
; MemoryBound: 0
; FloatMode: 240
; IeeeMode: 1
; LDSByteSize: 16384 bytes/workgroup (compile time only)
; SGPRBlocks: 0
; VGPRBlocks: 0
; NumSGPRsForWavesPerEU: 32
; NumVGPRsForWavesPerEU: 16
; NamedBarCnt: 0
; Occupancy: 16
; WaveLimiterHint : 0
; COMPUTE_PGM_RSRC2:SCRATCH_EN: 0
; COMPUTE_PGM_RSRC2:USER_SGPR: 4
; COMPUTE_PGM_RSRC2:TRAP_HANDLER: 0
; COMPUTE_PGM_RSRC2:TGID_X_EN: 1
; COMPUTE_PGM_RSRC2:TGID_Y_EN: 0
; COMPUTE_PGM_RSRC2:TGID_Z_EN: 0
; COMPUTE_PGM_RSRC2:TIDIG_COMP_CNT: 2
	.section	.text._ZN2at6native12_GLOBAL__N_123philox_multi_key_kernelIfZZZZNS0_21_philox_uniform_cuda_ERNS_6TensorERKS3_ddENKUlvE_clEvENKUlvE0_clEvENKUlvE_clEvEUlmmE0_ZZZNS0_21_philox_uniform_cuda_ES4_S6_ddENKS7_clEvENKS8_clEvEUlT_E_EEvPSB_PKmllT0_T1_16OffsetCalculatorILi1EjLb0EE,"axG",@progbits,_ZN2at6native12_GLOBAL__N_123philox_multi_key_kernelIfZZZZNS0_21_philox_uniform_cuda_ERNS_6TensorERKS3_ddENKUlvE_clEvENKUlvE0_clEvENKUlvE_clEvEUlmmE0_ZZZNS0_21_philox_uniform_cuda_ES4_S6_ddENKS7_clEvENKS8_clEvEUlT_E_EEvPSB_PKmllT0_T1_16OffsetCalculatorILi1EjLb0EE,comdat
	.globl	_ZN2at6native12_GLOBAL__N_123philox_multi_key_kernelIfZZZZNS0_21_philox_uniform_cuda_ERNS_6TensorERKS3_ddENKUlvE_clEvENKUlvE0_clEvENKUlvE_clEvEUlmmE0_ZZZNS0_21_philox_uniform_cuda_ES4_S6_ddENKS7_clEvENKS8_clEvEUlT_E_EEvPSB_PKmllT0_T1_16OffsetCalculatorILi1EjLb0EE ; -- Begin function _ZN2at6native12_GLOBAL__N_123philox_multi_key_kernelIfZZZZNS0_21_philox_uniform_cuda_ERNS_6TensorERKS3_ddENKUlvE_clEvENKUlvE0_clEvENKUlvE_clEvEUlmmE0_ZZZNS0_21_philox_uniform_cuda_ES4_S6_ddENKS7_clEvENKS8_clEvEUlT_E_EEvPSB_PKmllT0_T1_16OffsetCalculatorILi1EjLb0EE
	.p2align	8
	.type	_ZN2at6native12_GLOBAL__N_123philox_multi_key_kernelIfZZZZNS0_21_philox_uniform_cuda_ERNS_6TensorERKS3_ddENKUlvE_clEvENKUlvE0_clEvENKUlvE_clEvEUlmmE0_ZZZNS0_21_philox_uniform_cuda_ES4_S6_ddENKS7_clEvENKS8_clEvEUlT_E_EEvPSB_PKmllT0_T1_16OffsetCalculatorILi1EjLb0EE,@function
_ZN2at6native12_GLOBAL__N_123philox_multi_key_kernelIfZZZZNS0_21_philox_uniform_cuda_ERNS_6TensorERKS3_ddENKUlvE_clEvENKUlvE0_clEvENKUlvE_clEvEUlmmE0_ZZZNS0_21_philox_uniform_cuda_ES4_S6_ddENKS7_clEvENKS8_clEvEUlT_E_EEvPSB_PKmllT0_T1_16OffsetCalculatorILi1EjLb0EE: ; @_ZN2at6native12_GLOBAL__N_123philox_multi_key_kernelIfZZZZNS0_21_philox_uniform_cuda_ERNS_6TensorERKS3_ddENKUlvE_clEvENKUlvE0_clEvENKUlvE_clEvEUlmmE0_ZZZNS0_21_philox_uniform_cuda_ES4_S6_ddENKS7_clEvENKS8_clEvEUlT_E_EEvPSB_PKmllT0_T1_16OffsetCalculatorILi1EjLb0EE
; %bb.0:
	s_clause 0x1
	s_load_b128 s[4:7], s[0:1], 0x10
	s_load_b32 s10, s[0:1], 0x13c
	s_bfe_u32 s2, ttmp6, 0x4000c
	v_mov_b32_e32 v2, 0
	s_add_co_i32 s2, s2, 1
	s_mov_b32 s3, 0
	s_mul_i32 s15, ttmp9, s2
	s_and_b32 s11, ttmp6, 15
	s_getreg_b32 s14, hwreg(HW_REG_IB_STS2, 6, 4)
	v_mov_b32_e32 v1, v2
	s_add_co_i32 s11, s11, s15
	s_wait_kmcnt 0x0
	s_add_nc_u64 s[8:9], s[6:7], 3
	s_delay_alu instid0(SALU_CYCLE_1) | instskip(NEXT) | instid1(SALU_CYCLE_1)
	s_ashr_i32 s12, s9, 31
	s_lshr_b32 s2, s12, 30
	s_delay_alu instid0(SALU_CYCLE_1) | instskip(SKIP_4) | instid1(SALU_CYCLE_1)
	s_add_nc_u64 s[2:3], s[8:9], s[2:3]
	s_and_b32 s8, s10, 0xffff
	s_ashr_i64 s[12:13], s[2:3], 2
	s_cmp_eq_u32 s14, 0
	s_cselect_b32 s2, ttmp9, s11
	v_mad_nc_u64_u32 v[0:1], s8, s2, v[0:1]
	s_mul_u64 s[2:3], s[12:13], s[4:5]
	s_delay_alu instid0(VALU_DEP_1) | instid1(SALU_CYCLE_1)
	v_cmp_gt_i64_e32 vcc_lo, s[2:3], v[0:1]
	s_and_saveexec_b32 s2, vcc_lo
	s_cbranch_execz .LBB3_22
; %bb.1:
	v_or_b32_e32 v3, s13, v1
	s_delay_alu instid0(VALU_DEP_1) | instskip(SKIP_1) | instid1(SALU_CYCLE_1)
	v_cmp_ne_u64_e32 vcc_lo, 0, v[2:3]
                                        ; implicit-def: $vgpr2_vgpr3
	s_and_saveexec_b32 s2, vcc_lo
	s_xor_b32 s3, exec_lo, s2
	s_cbranch_execz .LBB3_3
; %bb.2:
	s_ashr_i32 s4, s13, 31
	s_mov_b32 s19, 0
	s_mov_b32 s5, s4
	v_dual_mov_b32 v7, 0 :: v_dual_ashrrev_i32 v2, 31, v1
	s_add_nc_u64 s[8:9], s[12:13], s[4:5]
	s_delay_alu instid0(SALU_CYCLE_1) | instskip(NEXT) | instid1(VALU_DEP_1)
	s_xor_b64 s[8:9], s[8:9], s[4:5]
	v_mov_b32_e32 v3, v2
	s_cvt_f32_u32 s2, s8
	s_cvt_f32_u32 s5, s9
	s_sub_nc_u64 s[14:15], 0, s[8:9]
	s_delay_alu instid0(VALU_DEP_1) | instskip(NEXT) | instid1(SALU_CYCLE_1)
	v_add_nc_u64_e32 v[4:5], v[0:1], v[2:3]
	s_fmamk_f32 s2, s5, 0x4f800000, s2
	v_mov_b32_e32 v9, v7
	s_delay_alu instid0(SALU_CYCLE_2) | instskip(NEXT) | instid1(VALU_DEP_2)
	v_s_rcp_f32 s2, s2
	v_xor_b32_e32 v6, v4, v2
	s_delay_alu instid0(VALU_DEP_3) | instskip(SKIP_1) | instid1(TRANS32_DEP_1)
	v_dual_mov_b32 v15, v7 :: v_dual_bitop2_b32 v8, v5, v2 bitop3:0x14
	v_xor_b32_e32 v2, s4, v2
	s_mul_f32 s2, s2, 0x5f7ffffc
	s_delay_alu instid0(SALU_CYCLE_3) | instskip(NEXT) | instid1(SALU_CYCLE_3)
	s_mul_f32 s5, s2, 0x2f800000
	s_trunc_f32 s5, s5
	s_delay_alu instid0(SALU_CYCLE_3) | instskip(SKIP_1) | instid1(SALU_CYCLE_2)
	s_fmamk_f32 s2, s5, 0xcf800000, s2
	s_cvt_u32_f32 s11, s5
	s_cvt_u32_f32 s10, s2
	s_delay_alu instid0(SALU_CYCLE_3) | instskip(NEXT) | instid1(SALU_CYCLE_1)
	s_mul_u64 s[16:17], s[14:15], s[10:11]
	s_mul_hi_u32 s21, s10, s17
	s_mul_i32 s20, s10, s17
	s_mul_hi_u32 s18, s10, s16
	s_mul_i32 s5, s11, s16
	s_add_nc_u64 s[20:21], s[18:19], s[20:21]
	s_mul_hi_u32 s2, s11, s16
	s_mul_hi_u32 s22, s11, s17
	s_add_co_u32 s5, s20, s5
	s_add_co_ci_u32 s18, s21, s2
	s_mul_i32 s16, s11, s17
	s_add_co_ci_u32 s17, s22, 0
	s_delay_alu instid0(SALU_CYCLE_1) | instskip(NEXT) | instid1(SALU_CYCLE_1)
	s_add_nc_u64 s[16:17], s[18:19], s[16:17]
	s_add_co_u32 s10, s10, s16
	s_cselect_b32 s2, -1, 0
	s_delay_alu instid0(SALU_CYCLE_1) | instskip(SKIP_1) | instid1(SALU_CYCLE_1)
	s_cmp_lg_u32 s2, 0
	s_add_co_ci_u32 s11, s11, s17
	s_mul_u64 s[14:15], s[14:15], s[10:11]
	s_delay_alu instid0(SALU_CYCLE_1)
	s_mul_hi_u32 s17, s10, s15
	s_mul_i32 s16, s10, s15
	s_mul_hi_u32 s18, s10, s14
	s_mul_i32 s5, s11, s14
	s_add_nc_u64 s[16:17], s[18:19], s[16:17]
	s_mul_hi_u32 s2, s11, s14
	s_mul_hi_u32 s20, s11, s15
	s_add_co_u32 s5, s16, s5
	s_add_co_ci_u32 s18, s17, s2
	s_mul_i32 s14, s11, s15
	s_add_co_ci_u32 s15, s20, 0
	s_delay_alu instid0(SALU_CYCLE_1) | instskip(NEXT) | instid1(SALU_CYCLE_1)
	s_add_nc_u64 s[14:15], s[18:19], s[14:15]
	s_add_co_u32 s2, s10, s14
	s_cselect_b32 s5, -1, 0
	v_mul_hi_u32 v14, v6, s2
	s_cmp_lg_u32 s5, 0
	s_add_co_ci_u32 s18, s11, s15
	s_mov_b64 s[10:11], 0xffffffff
	v_mul_u64_e32 v[10:11], s[18:19], v[6:7]
	s_and_b64 s[10:11], s[2:3], s[10:11]
	v_mul_u64_e32 v[12:13], s[18:19], v[8:9]
	v_mul_u64_e32 v[4:5], s[10:11], v[8:9]
	s_delay_alu instid0(VALU_DEP_3) | instskip(NEXT) | instid1(VALU_DEP_1)
	v_add_nc_u64_e32 v[10:11], v[14:15], v[10:11]
	v_add_co_u32 v3, vcc_lo, v10, v4
	s_delay_alu instid0(VALU_DEP_2) | instskip(SKIP_1) | instid1(VALU_DEP_1)
	v_add_co_ci_u32_e32 v14, vcc_lo, v11, v5, vcc_lo
	v_add_co_ci_u32_e32 v13, vcc_lo, 0, v13, vcc_lo
	v_add_nc_u64_e32 v[4:5], v[14:15], v[12:13]
	s_delay_alu instid0(VALU_DEP_1) | instskip(NEXT) | instid1(VALU_DEP_1)
	v_mul_u64_e32 v[10:11], s[8:9], v[4:5]
	v_sub_nc_u32_e32 v3, v8, v11
	s_delay_alu instid0(VALU_DEP_2) | instskip(NEXT) | instid1(VALU_DEP_1)
	v_sub_co_u32 v6, vcc_lo, v6, v10
	v_sub_co_ci_u32_e64 v10, null, v8, v11, vcc_lo
	s_delay_alu instid0(VALU_DEP_3) | instskip(NEXT) | instid1(VALU_DEP_3)
	v_subrev_co_ci_u32_e64 v3, null, s9, v3, vcc_lo
	v_sub_co_u32 v7, s2, v6, s8
	s_delay_alu instid0(VALU_DEP_1) | instskip(NEXT) | instid1(VALU_DEP_2)
	v_subrev_co_ci_u32_e64 v3, null, 0, v3, s2
	v_cmp_le_u32_e32 vcc_lo, s8, v7
	v_cndmask_b32_e64 v7, 0, -1, vcc_lo
	s_delay_alu instid0(VALU_DEP_3)
	v_cmp_le_u32_e32 vcc_lo, s9, v3
	v_cndmask_b32_e64 v8, 0, -1, vcc_lo
	v_cmp_le_u32_e32 vcc_lo, s8, v6
	v_cndmask_b32_e64 v11, 0, -1, vcc_lo
	;; [unrolled: 2-line block ×3, first 2 shown]
	v_cmp_eq_u32_e32 vcc_lo, s9, v3
	v_cndmask_b32_e32 v3, v8, v7, vcc_lo
	v_cmp_eq_u32_e32 vcc_lo, s9, v10
	v_add_nc_u64_e32 v[6:7], 2, v[4:5]
	v_add_nc_u64_e32 v[8:9], 1, v[4:5]
	v_cndmask_b32_e32 v10, v12, v11, vcc_lo
	v_cmp_ne_u32_e32 vcc_lo, 0, v3
	s_delay_alu instid0(VALU_DEP_2) | instskip(NEXT) | instid1(VALU_DEP_4)
	v_cmp_ne_u32_e64 s2, 0, v10
	v_dual_cndmask_b32 v6, v8, v6 :: v_dual_cndmask_b32 v3, v9, v7
	s_delay_alu instid0(VALU_DEP_1) | instskip(NEXT) | instid1(VALU_DEP_1)
	v_dual_cndmask_b32 v4, v4, v6, s2 :: v_dual_cndmask_b32 v5, v5, v3, s2
	v_dual_mov_b32 v3, v2 :: v_dual_bitop2_b32 v4, v4, v2 bitop3:0x14
	s_delay_alu instid0(VALU_DEP_2) | instskip(NEXT) | instid1(VALU_DEP_1)
	v_xor_b32_e32 v5, v5, v2
	v_sub_nc_u64_e32 v[2:3], v[4:5], v[2:3]
.LBB3_3:
	s_and_not1_saveexec_b32 s2, s3
	s_cbranch_execz .LBB3_5
; %bb.4:
	v_cvt_f32_u32_e32 v2, s12
	s_sub_co_i32 s3, 0, s12
	s_delay_alu instid0(VALU_DEP_1) | instskip(SKIP_1) | instid1(TRANS32_DEP_1)
	v_rcp_iflag_f32_e32 v2, v2
	v_nop
	v_mul_f32_e32 v2, 0x4f7ffffe, v2
	s_delay_alu instid0(VALU_DEP_1) | instskip(NEXT) | instid1(VALU_DEP_1)
	v_cvt_u32_f32_e32 v2, v2
	v_mul_lo_u32 v3, s3, v2
	s_delay_alu instid0(VALU_DEP_1) | instskip(NEXT) | instid1(VALU_DEP_1)
	v_mul_hi_u32 v3, v2, v3
	v_add_nc_u32_e32 v2, v2, v3
	s_delay_alu instid0(VALU_DEP_1) | instskip(NEXT) | instid1(VALU_DEP_1)
	v_mul_hi_u32 v2, v0, v2
	v_mul_lo_u32 v3, v2, s12
	s_delay_alu instid0(VALU_DEP_1) | instskip(NEXT) | instid1(VALU_DEP_1)
	v_dual_add_nc_u32 v4, 1, v2 :: v_dual_sub_nc_u32 v3, v0, v3
	v_subrev_nc_u32_e32 v5, s12, v3
	v_cmp_le_u32_e32 vcc_lo, s12, v3
	s_delay_alu instid0(VALU_DEP_2) | instskip(NEXT) | instid1(VALU_DEP_1)
	v_dual_cndmask_b32 v3, v3, v5 :: v_dual_cndmask_b32 v2, v2, v4
	v_cmp_le_u32_e32 vcc_lo, s12, v3
	s_delay_alu instid0(VALU_DEP_2) | instskip(NEXT) | instid1(VALU_DEP_1)
	v_dual_mov_b32 v3, 0 :: v_dual_add_nc_u32 v4, 1, v2
	v_cndmask_b32_e32 v2, v2, v4, vcc_lo
.LBB3_5:
	s_or_b32 exec_lo, exec_lo, s2
	s_clause 0x1
	s_load_b96 s[8:10], s[0:1], 0x24
	s_load_b64 s[2:3], s[0:1], 0x8
	s_add_nc_u64 s[4:5], s[0:1], 44
	s_mov_b32 s11, -1
                                        ; implicit-def: $vgpr6
	s_wait_kmcnt 0x0
	s_add_co_i32 s14, s10, -1
	s_delay_alu instid0(SALU_CYCLE_1)
	s_cmp_lt_u32 s14, 2
	s_cbranch_scc1 .LBB3_15
; %bb.6:
	s_cmp_lg_u32 s10, 0
	s_mov_b32 s11, 0
	s_cbranch_scc0 .LBB3_11
; %bb.7:
	s_min_u32 s15, s14, 15
	s_delay_alu instid0(SALU_CYCLE_1)
	s_add_co_i32 s15, s15, 1
	s_cmp_eq_u32 s14, 2
	s_cbranch_scc1 .LBB3_12
; %bb.8:
	v_dual_mov_b32 v6, 0 :: v_dual_mov_b32 v4, v2
	s_and_b32 s14, s15, 28
	s_add_nc_u64 s[16:17], s[4:5], 0xc4
	s_mov_b32 s20, 0
	s_mov_b64 s[18:19], s[4:5]
.LBB3_9:                                ; =>This Inner Loop Header: Depth=1
	s_clause 0x1
	s_load_b256 s[24:31], s[18:19], 0x4
	s_load_b128 s[36:39], s[18:19], 0x24
	s_load_b128 s[40:43], s[16:17], 0x0
	s_add_co_i32 s20, s20, 4
	s_wait_xcnt 0x0
	s_add_nc_u64 s[18:19], s[18:19], 48
	s_cmp_lg_u32 s14, s20
	s_add_nc_u64 s[16:17], s[16:17], 16
	s_wait_kmcnt 0x0
	v_mul_hi_u32 v5, s25, v4
	s_delay_alu instid0(VALU_DEP_1) | instskip(NEXT) | instid1(VALU_DEP_1)
	v_add_nc_u32_e32 v5, v4, v5
	v_lshrrev_b32_e32 v5, s26, v5
	s_delay_alu instid0(VALU_DEP_1) | instskip(NEXT) | instid1(VALU_DEP_1)
	v_mul_hi_u32 v7, s28, v5
	v_add_nc_u32_e32 v7, v5, v7
	s_delay_alu instid0(VALU_DEP_1) | instskip(NEXT) | instid1(VALU_DEP_1)
	v_lshrrev_b32_e32 v7, s29, v7
	v_mul_hi_u32 v8, s31, v7
	s_delay_alu instid0(VALU_DEP_1) | instskip(SKIP_1) | instid1(VALU_DEP_2)
	v_add_nc_u32_e32 v8, v7, v8
	v_mul_lo_u32 v9, v5, s24
	v_lshrrev_b32_e32 v8, s36, v8
	s_delay_alu instid0(VALU_DEP_1) | instskip(NEXT) | instid1(VALU_DEP_3)
	v_mul_hi_u32 v10, s38, v8
	v_sub_nc_u32_e32 v4, v4, v9
	v_mul_lo_u32 v9, v7, s27
	s_delay_alu instid0(VALU_DEP_1) | instskip(NEXT) | instid1(VALU_DEP_3)
	v_sub_nc_u32_e32 v5, v5, v9
	v_mad_u32 v4, v4, s40, v6
	v_mul_lo_u32 v6, v8, s30
	v_add_nc_u32_e32 v9, v8, v10
	s_delay_alu instid0(VALU_DEP_3) | instskip(NEXT) | instid1(VALU_DEP_2)
	v_mad_u32 v5, v5, s41, v4
	v_dual_lshrrev_b32 v4, s39, v9 :: v_dual_sub_nc_u32 v6, v7, v6
	s_delay_alu instid0(VALU_DEP_1) | instskip(NEXT) | instid1(VALU_DEP_2)
	v_mul_lo_u32 v7, v4, s37
	v_mad_u32 v5, v6, s42, v5
	s_delay_alu instid0(VALU_DEP_2) | instskip(NEXT) | instid1(VALU_DEP_1)
	v_sub_nc_u32_e32 v6, v8, v7
	v_mad_u32 v6, v6, s43, v5
	s_cbranch_scc1 .LBB3_9
; %bb.10:
	s_and_b32 s18, s15, 3
	s_mov_b32 s15, 0
	s_cmp_eq_u32 s18, 0
	s_cbranch_scc0 .LBB3_13
	s_branch .LBB3_15
.LBB3_11:
	v_mov_b32_e32 v6, 0
	s_branch .LBB3_15
.LBB3_12:
	v_dual_mov_b32 v6, 0 :: v_dual_mov_b32 v4, v2
	s_mov_b32 s14, 0
	s_and_b32 s18, s15, 3
	s_mov_b32 s15, 0
	s_cmp_eq_u32 s18, 0
	s_cbranch_scc1 .LBB3_15
.LBB3_13:
	s_lshl_b32 s16, s14, 2
	s_mov_b32 s17, s15
	s_mul_u64 s[20:21], s[14:15], 12
	s_add_nc_u64 s[16:17], s[4:5], s[16:17]
	s_delay_alu instid0(SALU_CYCLE_1)
	s_add_nc_u64 s[14:15], s[16:17], 0xc4
	s_add_nc_u64 s[16:17], s[4:5], s[20:21]
.LBB3_14:                               ; =>This Inner Loop Header: Depth=1
	s_load_b96 s[20:22], s[16:17], 0x4
	s_load_b32 s19, s[14:15], 0x0
	s_add_co_i32 s18, s18, -1
	s_wait_xcnt 0x0
	s_add_nc_u64 s[16:17], s[16:17], 12
	s_cmp_lg_u32 s18, 0
	s_add_nc_u64 s[14:15], s[14:15], 4
	s_wait_kmcnt 0x0
	v_mul_hi_u32 v5, s21, v4
	s_delay_alu instid0(VALU_DEP_1) | instskip(NEXT) | instid1(VALU_DEP_1)
	v_add_nc_u32_e32 v5, v4, v5
	v_lshrrev_b32_e32 v5, s22, v5
	s_delay_alu instid0(VALU_DEP_1) | instskip(NEXT) | instid1(VALU_DEP_1)
	v_mul_lo_u32 v7, v5, s20
	v_sub_nc_u32_e32 v4, v4, v7
	s_delay_alu instid0(VALU_DEP_1)
	v_mad_u32 v6, v4, s19, v6
	v_mov_b32_e32 v4, v5
	s_cbranch_scc1 .LBB3_14
.LBB3_15:
	s_and_not1_b32 vcc_lo, exec_lo, s11
	s_cbranch_vccnz .LBB3_18
; %bb.16:
	s_clause 0x1
	s_load_b96 s[16:18], s[4:5], 0x4
	s_load_b32 s11, s[4:5], 0xc4
	v_dual_mov_b32 v5, 0 :: v_dual_mov_b32 v4, v2
	s_mov_b32 s15, 0
	s_cmp_lt_u32 s10, 2
	s_wait_kmcnt 0x0
	s_mov_b32 s14, s17
	s_delay_alu instid0(SALU_CYCLE_1) | instskip(NEXT) | instid1(VALU_DEP_1)
	v_mul_u64_e32 v[4:5], s[14:15], v[4:5]
	v_add_nc_u32_e32 v4, v5, v2
	s_delay_alu instid0(VALU_DEP_1) | instskip(NEXT) | instid1(VALU_DEP_1)
	v_lshrrev_b32_e32 v4, s18, v4
	v_mul_lo_u32 v5, v4, s16
	s_delay_alu instid0(VALU_DEP_1) | instskip(NEXT) | instid1(VALU_DEP_1)
	v_sub_nc_u32_e32 v5, v2, v5
	v_mul_lo_u32 v6, v5, s11
	s_cbranch_scc1 .LBB3_18
; %bb.17:
	s_clause 0x1
	s_load_b96 s[16:18], s[4:5], 0x10
	s_load_b32 s10, s[4:5], 0xc8
	s_wait_kmcnt 0x0
	v_mul_hi_u32 v5, s17, v4
	s_delay_alu instid0(VALU_DEP_1) | instskip(NEXT) | instid1(VALU_DEP_1)
	v_add_nc_u32_e32 v5, v4, v5
	v_lshrrev_b32_e32 v5, s18, v5
	s_delay_alu instid0(VALU_DEP_1) | instskip(NEXT) | instid1(VALU_DEP_1)
	v_mul_lo_u32 v5, v5, s16
	v_sub_nc_u32_e32 v4, v4, v5
	s_delay_alu instid0(VALU_DEP_1)
	v_mad_u32 v6, v4, s10, v6
.LBB3_18:
	s_delay_alu instid0(VALU_DEP_1)
	v_add_nc_u32_e32 v7, 1, v6
	s_mov_b64 s[4:5], 0xcd9e8d57
	s_load_b64 s[0:1], s[0:1], 0x0
	s_clause 0x1
	global_load_b64 v[8:9], v7, s[2:3] scale_offset
	global_load_b64 v[4:5], v6, s[2:3] scale_offset
	s_wait_xcnt 0x0
	v_mul_u64_e32 v[6:7], s[12:13], v[2:3]
	s_mov_b64 s[2:3], 0xd2511f53
	s_delay_alu instid0(VALU_DEP_1) | instskip(SKIP_1) | instid1(VALU_DEP_1)
	v_sub_nc_u64_e32 v[6:7], v[0:1], v[6:7]
	s_wait_loadcnt 0x1
	v_add_nc_u64_e32 v[0:1], v[8:9], v[6:7]
	s_wait_loadcnt 0x0
	v_dual_mov_b32 v9, 0 :: v_dual_add_nc_u32 v16, 0xf1bbcdc8, v4
	v_add_nc_u32_e32 v17, 0xdb3d7428, v5
	s_delay_alu instid0(VALU_DEP_2) | instskip(NEXT) | instid1(VALU_DEP_4)
	v_dual_mov_b32 v13, v9 :: v_dual_mov_b32 v8, v0
	v_xor_b32_e32 v12, v1, v4
	v_mul_lo_u32 v0, 0xd2511f53, v0
	v_add_nc_u32_e32 v1, 0xbb67ae85, v5
	s_delay_alu instid0(VALU_DEP_4) | instskip(NEXT) | instid1(VALU_DEP_1)
	v_mul_u64_e32 v[10:11], s[2:3], v[8:9]
	v_xor_b32_e32 v8, v11, v5
	v_mul_u64_e32 v[10:11], s[2:3], v[12:13]
	v_mul_lo_u32 v10, 0xd2511f53, v12
	v_add_nc_u32_e32 v12, 0x3c6ef372, v4
	v_add_nc_u32_e32 v13, 0x76cf5d0a, v5
	v_mul_u64_e32 v[14:15], s[4:5], v[8:9]
	v_add_nc_u32_e32 v9, 0x9e3779b9, v4
	v_mul_lo_u32 v8, 0xcd9e8d57, v8
	v_add_nc_u32_e32 v14, 0x1fd5c5a3, v5
	s_and_b64 s[4:5], s[6:7], 3
	s_mov_b32 s3, 0
	s_cmp_lg_u64 s[4:5], 0
	s_cselect_b32 s10, -1, 0
	s_ashr_i32 s2, s7, 31
	s_delay_alu instid0(SALU_CYCLE_1) | instskip(NEXT) | instid1(SALU_CYCLE_1)
	s_lshr_b32 s2, s2, 30
	s_add_nc_u64 s[4:5], s[6:7], s[2:3]
	s_sub_f32 s2, s9, s8
	s_ashr_i64 s[4:5], s[4:5], 2
	s_delay_alu instid0(SALU_CYCLE_1) | instskip(SKIP_3) | instid1(VALU_DEP_2)
	v_cmp_le_i64_e32 vcc_lo, s[4:5], v[6:7]
	s_or_b32 s4, s10, vcc_lo
	v_xor3_b32 v0, v0, v1, v11
	v_xor_b32_e32 v1, v9, v15
	v_mul_hi_u32 v9, 0xcd9e8d57, v0
	v_mul_lo_u32 v0, 0xcd9e8d57, v0
	v_add_nc_u32_e32 v15, 0x5384540f, v4
	s_delay_alu instid0(VALU_DEP_4) | instskip(SKIP_3) | instid1(VALU_DEP_4)
	v_mul_hi_u32 v11, 0xd2511f53, v1
	v_mul_lo_u32 v1, 0xd2511f53, v1
	v_xor3_b32 v8, v8, v12, v9
	v_add_nc_u32_e32 v12, 0x32370b8f, v5
	v_xor3_b32 v9, v10, v13, v11
	s_delay_alu instid0(VALU_DEP_3) | instskip(SKIP_2) | instid1(VALU_DEP_4)
	v_mul_hi_u32 v10, 0xd2511f53, v8
	v_add_nc_u32_e32 v13, 0xdaa66d2b, v4
	v_mul_lo_u32 v8, 0xd2511f53, v8
	v_mul_hi_u32 v11, 0xcd9e8d57, v9
	v_mul_lo_u32 v9, 0xcd9e8d57, v9
	v_xor3_b32 v1, v1, v12, v10
	v_add_nc_u32_e32 v12, 0x78dde6e4, v4
	s_delay_alu instid0(VALU_DEP_4) | instskip(NEXT) | instid1(VALU_DEP_3)
	v_xor3_b32 v0, v0, v13, v11
	v_mul_hi_u32 v10, 0xcd9e8d57, v1
	v_add_nc_u32_e32 v13, 0xed9eba14, v5
	v_mul_lo_u32 v1, 0xcd9e8d57, v1
	s_delay_alu instid0(VALU_DEP_4) | instskip(SKIP_3) | instid1(VALU_DEP_4)
	v_mul_hi_u32 v11, 0xd2511f53, v0
	v_mul_lo_u32 v0, 0xd2511f53, v0
	v_xor3_b32 v9, v9, v12, v10
	v_add_nc_u32_e32 v12, 0xa9066899, v5
	v_xor3_b32 v8, v8, v13, v11
	s_delay_alu instid0(VALU_DEP_3) | instskip(SKIP_2) | instid1(VALU_DEP_4)
	v_mul_hi_u32 v10, 0xd2511f53, v9
	v_add_nc_u32_e32 v13, 0x1715609d, v4
	v_mul_lo_u32 v9, 0xd2511f53, v9
	v_mul_hi_u32 v11, 0xcd9e8d57, v8
	v_mul_lo_u32 v8, 0xcd9e8d57, v8
	v_xor3_b32 v0, v0, v12, v10
	v_add_nc_u32_e32 v12, 0xb54cda56, v4
	s_delay_alu instid0(VALU_DEP_4) | instskip(NEXT) | instid1(VALU_DEP_3)
	v_xor3_b32 v1, v1, v13, v11
	v_mul_hi_u32 v10, 0xcd9e8d57, v0
	v_add_nc_u32_e32 v13, 0x646e171e, v5
	v_mul_lo_u32 v0, 0xcd9e8d57, v0
	s_delay_alu instid0(VALU_DEP_4) | instskip(SKIP_2) | instid1(VALU_DEP_3)
	v_mul_hi_u32 v11, 0xd2511f53, v1
	v_mul_lo_u32 v1, 0xd2511f53, v1
	v_xor3_b32 v10, v8, v12, v10
	v_xor3_b32 v11, v9, v13, v11
	s_delay_alu instid0(VALU_DEP_2) | instskip(SKIP_1) | instid1(VALU_DEP_3)
	v_mul_hi_u32 v12, 0xd2511f53, v10
	v_lshlrev_b64_e32 v[8:9], 2, v[6:7]
	v_mul_hi_u32 v13, 0xcd9e8d57, v11
	s_delay_alu instid0(VALU_DEP_3) | instskip(SKIP_2) | instid1(VALU_DEP_4)
	v_xor3_b32 v12, v1, v14, v12
	v_mul_lo_u32 v14, 0xd2511f53, v10
	v_mul_lo_u32 v10, 0xcd9e8d57, v11
	v_xor3_b32 v13, v0, v15, v13
	v_mad_nc_u64_u32 v[0:1], v2, s6, v[8:9]
	v_mul_hi_u32 v11, 0xcd9e8d57, v12
	v_mul_lo_u32 v12, 0xcd9e8d57, v12
	s_delay_alu instid0(VALU_DEP_4) | instskip(SKIP_3) | instid1(VALU_DEP_4)
	v_mul_hi_u32 v15, 0xd2511f53, v13
	v_mul_lo_u32 v13, 0xd2511f53, v13
	v_mad_u32 v1, v3, s6, v1
	v_xor3_b32 v10, v10, v16, v11
	v_xor3_b32 v3, v14, v17, v15
	s_delay_alu instid0(VALU_DEP_2) | instskip(NEXT) | instid1(VALU_DEP_2)
	v_mul_hi_u32 v14, 0xd2511f53, v10
	v_mul_hi_u32 v15, 0xcd9e8d57, v3
	v_mul_lo_u32 v11, 0xcd9e8d57, v3
	v_mad_u32 v1, v2, s7, v1
	v_add_nc_u32_e32 v2, 0x8ff34781, v4
	v_add_nc_u32_e32 v3, 0x96a522ad, v5
	s_delay_alu instid0(VALU_DEP_1) | instskip(NEXT) | instid1(VALU_DEP_3)
	v_xor3_b32 v4, v13, v3, v14
	v_xor3_b32 v2, v12, v2, v15
	s_and_saveexec_b32 s5, s4
	s_delay_alu instid0(SALU_CYCLE_1)
	s_xor_b32 s4, exec_lo, s5
	s_cbranch_execnz .LBB3_23
; %bb.19:
	s_and_not1_saveexec_b32 s4, s4
	s_cbranch_execnz .LBB3_30
.LBB3_20:
	s_or_b32 exec_lo, exec_lo, s4
	s_delay_alu instid0(SALU_CYCLE_1)
	s_and_b32 exec_lo, exec_lo, s3
	s_cbranch_execz .LBB3_22
.LBB3_21:
	v_mul_lo_u32 v2, 0x511f53, v10
	s_wait_kmcnt 0x0
	v_lshl_add_u64 v[0:1], v[0:1], 2, s[0:1]
	s_delay_alu instid0(VALU_DEP_2) | instskip(NEXT) | instid1(VALU_DEP_1)
	v_and_b32_e32 v2, 0xffffff, v2
	v_cvt_f32_u32_e32 v2, v2
	s_delay_alu instid0(VALU_DEP_1) | instskip(NEXT) | instid1(VALU_DEP_1)
	v_mul_f32_e32 v2, 0x33800000, v2
	v_fma_f32 v2, s2, v2, s8
	global_store_b32 v[0:1], v2, off offset:12
.LBB3_22:
	s_endpgm
.LBB3_23:
	s_mov_b32 s5, 0
	s_mov_b32 s3, exec_lo
	v_cmpx_gt_i64_e64 s[6:7], v[8:9]
	s_cbranch_execz .LBB3_29
; %bb.24:
	v_and_b32_e32 v2, 0xffffff, v2
	v_dual_mov_b32 v7, v9 :: v_dual_bitop2_b32 v6, 1, v8 bitop3:0x54
	s_mov_b32 s9, 0
	s_mov_b32 s5, exec_lo
	s_delay_alu instid0(VALU_DEP_2) | instskip(NEXT) | instid1(VALU_DEP_1)
	v_cvt_f32_u32_e32 v2, v2
	v_mul_f32_e32 v5, 0x33800000, v2
	s_wait_kmcnt 0x0
	v_lshl_add_u64 v[2:3], v[0:1], 2, s[0:1]
	s_delay_alu instid0(VALU_DEP_2)
	v_fma_f32 v5, s2, v5, s8
	global_store_b32 v[2:3], v5, off
	s_wait_xcnt 0x0
	v_cmpx_gt_u64_e64 s[6:7], v[6:7]
	s_cbranch_execz .LBB3_28
; %bb.25:
	v_and_b32_e32 v5, 0xffffff, v11
	v_dual_mov_b32 v7, v9 :: v_dual_bitop2_b32 v6, 2, v8 bitop3:0x54
	s_mov_b32 s10, 0
	s_mov_b32 s9, exec_lo
	s_delay_alu instid0(VALU_DEP_2) | instskip(NEXT) | instid1(VALU_DEP_1)
	v_cvt_f32_u32_e32 v5, v5
	v_mul_f32_e32 v5, 0x33800000, v5
	s_delay_alu instid0(VALU_DEP_1)
	v_fma_f32 v5, s2, v5, s8
	global_store_b32 v[2:3], v5, off offset:4
	s_wait_xcnt 0x0
	v_cmpx_gt_u64_e64 s[6:7], v[6:7]
	s_xor_b32 s9, exec_lo, s9
	s_cbranch_execz .LBB3_27
; %bb.26:
	v_and_b32_e32 v4, 0xffffff, v4
	v_or_b32_e32 v8, 3, v8
	s_delay_alu instid0(VALU_DEP_2) | instskip(NEXT) | instid1(VALU_DEP_2)
	v_cvt_f32_u32_e32 v4, v4
	v_cmp_gt_u64_e32 vcc_lo, s[6:7], v[8:9]
	s_delay_alu instid0(VALU_DEP_2) | instskip(SKIP_1) | instid1(VALU_DEP_1)
	v_mul_f32_e32 v4, 0x33800000, v4
	s_and_b32 s10, vcc_lo, exec_lo
	v_fma_f32 v4, s2, v4, s8
	global_store_b32 v[2:3], v4, off offset:8
.LBB3_27:
	s_wait_xcnt 0x0
	s_or_b32 exec_lo, exec_lo, s9
	s_delay_alu instid0(SALU_CYCLE_1)
	s_and_b32 s9, s10, exec_lo
.LBB3_28:
	s_or_b32 exec_lo, exec_lo, s5
	s_delay_alu instid0(SALU_CYCLE_1)
	s_and_b32 s5, s9, exec_lo
.LBB3_29:
	s_or_b32 exec_lo, exec_lo, s3
	s_delay_alu instid0(SALU_CYCLE_1)
	s_and_b32 s3, s5, exec_lo
                                        ; implicit-def: $vgpr11
                                        ; implicit-def: $vgpr2
                                        ; implicit-def: $vgpr4
	s_and_not1_saveexec_b32 s4, s4
	s_cbranch_execz .LBB3_20
.LBB3_30:
	v_and_b32_e32 v3, 0xffffff, v4
	v_and_b32_e32 v4, 0xffffff, v11
	;; [unrolled: 1-line block ×3, first 2 shown]
	s_mov_b32 s6, 0x33800000
	s_wait_kmcnt 0x0
	v_lshl_add_u64 v[6:7], v[0:1], 2, s[0:1]
	v_cvt_f32_u32_e32 v5, v3
	v_cvt_f32_u32_e32 v3, v4
	;; [unrolled: 1-line block ×3, first 2 shown]
	s_delay_alu instid0(VALU_DEP_3) | instskip(NEXT) | instid1(VALU_DEP_2)
	v_mul_f32_e32 v4, 0x33800000, v5
	v_pk_mul_f32 v[2:3], v[2:3], s[6:7] op_sel_hi:[1,0]
	s_delay_alu instid0(VALU_DEP_2) | instskip(NEXT) | instid1(VALU_DEP_2)
	v_fma_f32 v4, s2, v4, s8
	v_pk_fma_f32 v[2:3], s[2:3], v[2:3], s[8:9] op_sel_hi:[0,1,0]
	s_or_b32 s3, s3, exec_lo
	global_store_b96 v[6:7], v[2:4], off
	s_wait_xcnt 0x0
	s_or_b32 exec_lo, exec_lo, s4
	s_delay_alu instid0(SALU_CYCLE_1)
	s_and_b32 exec_lo, exec_lo, s3
	s_cbranch_execnz .LBB3_21
	s_branch .LBB3_22
	.section	.rodata,"a",@progbits
	.p2align	6, 0x0
	.amdhsa_kernel _ZN2at6native12_GLOBAL__N_123philox_multi_key_kernelIfZZZZNS0_21_philox_uniform_cuda_ERNS_6TensorERKS3_ddENKUlvE_clEvENKUlvE0_clEvENKUlvE_clEvEUlmmE0_ZZZNS0_21_philox_uniform_cuda_ES4_S6_ddENKS7_clEvENKS8_clEvEUlT_E_EEvPSB_PKmllT0_T1_16OffsetCalculatorILi1EjLb0EE
		.amdhsa_group_segment_fixed_size 0
		.amdhsa_private_segment_fixed_size 0
		.amdhsa_kernarg_size 560
		.amdhsa_user_sgpr_count 2
		.amdhsa_user_sgpr_dispatch_ptr 0
		.amdhsa_user_sgpr_queue_ptr 0
		.amdhsa_user_sgpr_kernarg_segment_ptr 1
		.amdhsa_user_sgpr_dispatch_id 0
		.amdhsa_user_sgpr_kernarg_preload_length 0
		.amdhsa_user_sgpr_kernarg_preload_offset 0
		.amdhsa_user_sgpr_private_segment_size 0
		.amdhsa_wavefront_size32 1
		.amdhsa_uses_dynamic_stack 0
		.amdhsa_enable_private_segment 0
		.amdhsa_system_sgpr_workgroup_id_x 1
		.amdhsa_system_sgpr_workgroup_id_y 0
		.amdhsa_system_sgpr_workgroup_id_z 0
		.amdhsa_system_sgpr_workgroup_info 0
		.amdhsa_system_vgpr_workitem_id 0
		.amdhsa_next_free_vgpr 18
		.amdhsa_next_free_sgpr 44
		.amdhsa_named_barrier_count 0
		.amdhsa_reserve_vcc 1
		.amdhsa_float_round_mode_32 0
		.amdhsa_float_round_mode_16_64 0
		.amdhsa_float_denorm_mode_32 3
		.amdhsa_float_denorm_mode_16_64 3
		.amdhsa_fp16_overflow 0
		.amdhsa_memory_ordered 1
		.amdhsa_forward_progress 1
		.amdhsa_inst_pref_size 25
		.amdhsa_round_robin_scheduling 0
		.amdhsa_exception_fp_ieee_invalid_op 0
		.amdhsa_exception_fp_denorm_src 0
		.amdhsa_exception_fp_ieee_div_zero 0
		.amdhsa_exception_fp_ieee_overflow 0
		.amdhsa_exception_fp_ieee_underflow 0
		.amdhsa_exception_fp_ieee_inexact 0
		.amdhsa_exception_int_div_zero 0
	.end_amdhsa_kernel
	.section	.text._ZN2at6native12_GLOBAL__N_123philox_multi_key_kernelIfZZZZNS0_21_philox_uniform_cuda_ERNS_6TensorERKS3_ddENKUlvE_clEvENKUlvE0_clEvENKUlvE_clEvEUlmmE0_ZZZNS0_21_philox_uniform_cuda_ES4_S6_ddENKS7_clEvENKS8_clEvEUlT_E_EEvPSB_PKmllT0_T1_16OffsetCalculatorILi1EjLb0EE,"axG",@progbits,_ZN2at6native12_GLOBAL__N_123philox_multi_key_kernelIfZZZZNS0_21_philox_uniform_cuda_ERNS_6TensorERKS3_ddENKUlvE_clEvENKUlvE0_clEvENKUlvE_clEvEUlmmE0_ZZZNS0_21_philox_uniform_cuda_ES4_S6_ddENKS7_clEvENKS8_clEvEUlT_E_EEvPSB_PKmllT0_T1_16OffsetCalculatorILi1EjLb0EE,comdat
.Lfunc_end3:
	.size	_ZN2at6native12_GLOBAL__N_123philox_multi_key_kernelIfZZZZNS0_21_philox_uniform_cuda_ERNS_6TensorERKS3_ddENKUlvE_clEvENKUlvE0_clEvENKUlvE_clEvEUlmmE0_ZZZNS0_21_philox_uniform_cuda_ES4_S6_ddENKS7_clEvENKS8_clEvEUlT_E_EEvPSB_PKmllT0_T1_16OffsetCalculatorILi1EjLb0EE, .Lfunc_end3-_ZN2at6native12_GLOBAL__N_123philox_multi_key_kernelIfZZZZNS0_21_philox_uniform_cuda_ERNS_6TensorERKS3_ddENKUlvE_clEvENKUlvE0_clEvENKUlvE_clEvEUlmmE0_ZZZNS0_21_philox_uniform_cuda_ES4_S6_ddENKS7_clEvENKS8_clEvEUlT_E_EEvPSB_PKmllT0_T1_16OffsetCalculatorILi1EjLb0EE
                                        ; -- End function
	.set _ZN2at6native12_GLOBAL__N_123philox_multi_key_kernelIfZZZZNS0_21_philox_uniform_cuda_ERNS_6TensorERKS3_ddENKUlvE_clEvENKUlvE0_clEvENKUlvE_clEvEUlmmE0_ZZZNS0_21_philox_uniform_cuda_ES4_S6_ddENKS7_clEvENKS8_clEvEUlT_E_EEvPSB_PKmllT0_T1_16OffsetCalculatorILi1EjLb0EE.num_vgpr, 18
	.set _ZN2at6native12_GLOBAL__N_123philox_multi_key_kernelIfZZZZNS0_21_philox_uniform_cuda_ERNS_6TensorERKS3_ddENKUlvE_clEvENKUlvE0_clEvENKUlvE_clEvEUlmmE0_ZZZNS0_21_philox_uniform_cuda_ES4_S6_ddENKS7_clEvENKS8_clEvEUlT_E_EEvPSB_PKmllT0_T1_16OffsetCalculatorILi1EjLb0EE.num_agpr, 0
	.set _ZN2at6native12_GLOBAL__N_123philox_multi_key_kernelIfZZZZNS0_21_philox_uniform_cuda_ERNS_6TensorERKS3_ddENKUlvE_clEvENKUlvE0_clEvENKUlvE_clEvEUlmmE0_ZZZNS0_21_philox_uniform_cuda_ES4_S6_ddENKS7_clEvENKS8_clEvEUlT_E_EEvPSB_PKmllT0_T1_16OffsetCalculatorILi1EjLb0EE.numbered_sgpr, 44
	.set _ZN2at6native12_GLOBAL__N_123philox_multi_key_kernelIfZZZZNS0_21_philox_uniform_cuda_ERNS_6TensorERKS3_ddENKUlvE_clEvENKUlvE0_clEvENKUlvE_clEvEUlmmE0_ZZZNS0_21_philox_uniform_cuda_ES4_S6_ddENKS7_clEvENKS8_clEvEUlT_E_EEvPSB_PKmllT0_T1_16OffsetCalculatorILi1EjLb0EE.num_named_barrier, 0
	.set _ZN2at6native12_GLOBAL__N_123philox_multi_key_kernelIfZZZZNS0_21_philox_uniform_cuda_ERNS_6TensorERKS3_ddENKUlvE_clEvENKUlvE0_clEvENKUlvE_clEvEUlmmE0_ZZZNS0_21_philox_uniform_cuda_ES4_S6_ddENKS7_clEvENKS8_clEvEUlT_E_EEvPSB_PKmllT0_T1_16OffsetCalculatorILi1EjLb0EE.private_seg_size, 0
	.set _ZN2at6native12_GLOBAL__N_123philox_multi_key_kernelIfZZZZNS0_21_philox_uniform_cuda_ERNS_6TensorERKS3_ddENKUlvE_clEvENKUlvE0_clEvENKUlvE_clEvEUlmmE0_ZZZNS0_21_philox_uniform_cuda_ES4_S6_ddENKS7_clEvENKS8_clEvEUlT_E_EEvPSB_PKmllT0_T1_16OffsetCalculatorILi1EjLb0EE.uses_vcc, 1
	.set _ZN2at6native12_GLOBAL__N_123philox_multi_key_kernelIfZZZZNS0_21_philox_uniform_cuda_ERNS_6TensorERKS3_ddENKUlvE_clEvENKUlvE0_clEvENKUlvE_clEvEUlmmE0_ZZZNS0_21_philox_uniform_cuda_ES4_S6_ddENKS7_clEvENKS8_clEvEUlT_E_EEvPSB_PKmllT0_T1_16OffsetCalculatorILi1EjLb0EE.uses_flat_scratch, 0
	.set _ZN2at6native12_GLOBAL__N_123philox_multi_key_kernelIfZZZZNS0_21_philox_uniform_cuda_ERNS_6TensorERKS3_ddENKUlvE_clEvENKUlvE0_clEvENKUlvE_clEvEUlmmE0_ZZZNS0_21_philox_uniform_cuda_ES4_S6_ddENKS7_clEvENKS8_clEvEUlT_E_EEvPSB_PKmllT0_T1_16OffsetCalculatorILi1EjLb0EE.has_dyn_sized_stack, 0
	.set _ZN2at6native12_GLOBAL__N_123philox_multi_key_kernelIfZZZZNS0_21_philox_uniform_cuda_ERNS_6TensorERKS3_ddENKUlvE_clEvENKUlvE0_clEvENKUlvE_clEvEUlmmE0_ZZZNS0_21_philox_uniform_cuda_ES4_S6_ddENKS7_clEvENKS8_clEvEUlT_E_EEvPSB_PKmllT0_T1_16OffsetCalculatorILi1EjLb0EE.has_recursion, 0
	.set _ZN2at6native12_GLOBAL__N_123philox_multi_key_kernelIfZZZZNS0_21_philox_uniform_cuda_ERNS_6TensorERKS3_ddENKUlvE_clEvENKUlvE0_clEvENKUlvE_clEvEUlmmE0_ZZZNS0_21_philox_uniform_cuda_ES4_S6_ddENKS7_clEvENKS8_clEvEUlT_E_EEvPSB_PKmllT0_T1_16OffsetCalculatorILi1EjLb0EE.has_indirect_call, 0
	.section	.AMDGPU.csdata,"",@progbits
; Kernel info:
; codeLenInByte = 3104
; TotalNumSgprs: 46
; NumVgprs: 18
; ScratchSize: 0
; MemoryBound: 0
; FloatMode: 240
; IeeeMode: 1
; LDSByteSize: 0 bytes/workgroup (compile time only)
; SGPRBlocks: 0
; VGPRBlocks: 1
; NumSGPRsForWavesPerEU: 46
; NumVGPRsForWavesPerEU: 18
; NamedBarCnt: 0
; Occupancy: 16
; WaveLimiterHint : 1
; COMPUTE_PGM_RSRC2:SCRATCH_EN: 0
; COMPUTE_PGM_RSRC2:USER_SGPR: 2
; COMPUTE_PGM_RSRC2:TRAP_HANDLER: 0
; COMPUTE_PGM_RSRC2:TGID_X_EN: 1
; COMPUTE_PGM_RSRC2:TGID_Y_EN: 0
; COMPUTE_PGM_RSRC2:TGID_Z_EN: 0
; COMPUTE_PGM_RSRC2:TIDIG_COMP_CNT: 0
	.section	.text._ZN2at6native12_GLOBAL__N_124philox_single_key_kernelIN3c104HalfEZZZZNS0_21_philox_uniform_cuda_ERNS_6TensorERKS5_ddENKUlvE_clEvENKUlvE1_clEvENKUlvE_clEvEUlmmE0_ZZZNS0_21_philox_uniform_cuda_ES6_S8_ddENKS9_clEvENKSA_clEvEUlT_E_EEvPSD_PKmlT0_T1_,"axG",@progbits,_ZN2at6native12_GLOBAL__N_124philox_single_key_kernelIN3c104HalfEZZZZNS0_21_philox_uniform_cuda_ERNS_6TensorERKS5_ddENKUlvE_clEvENKUlvE1_clEvENKUlvE_clEvEUlmmE0_ZZZNS0_21_philox_uniform_cuda_ES6_S8_ddENKS9_clEvENKSA_clEvEUlT_E_EEvPSD_PKmlT0_T1_,comdat
	.globl	_ZN2at6native12_GLOBAL__N_124philox_single_key_kernelIN3c104HalfEZZZZNS0_21_philox_uniform_cuda_ERNS_6TensorERKS5_ddENKUlvE_clEvENKUlvE1_clEvENKUlvE_clEvEUlmmE0_ZZZNS0_21_philox_uniform_cuda_ES6_S8_ddENKS9_clEvENKSA_clEvEUlT_E_EEvPSD_PKmlT0_T1_ ; -- Begin function _ZN2at6native12_GLOBAL__N_124philox_single_key_kernelIN3c104HalfEZZZZNS0_21_philox_uniform_cuda_ERNS_6TensorERKS5_ddENKUlvE_clEvENKUlvE1_clEvENKUlvE_clEvEUlmmE0_ZZZNS0_21_philox_uniform_cuda_ES6_S8_ddENKS9_clEvENKSA_clEvEUlT_E_EEvPSD_PKmlT0_T1_
	.p2align	8
	.type	_ZN2at6native12_GLOBAL__N_124philox_single_key_kernelIN3c104HalfEZZZZNS0_21_philox_uniform_cuda_ERNS_6TensorERKS5_ddENKUlvE_clEvENKUlvE1_clEvENKUlvE_clEvEUlmmE0_ZZZNS0_21_philox_uniform_cuda_ES6_S8_ddENKS9_clEvENKSA_clEvEUlT_E_EEvPSD_PKmlT0_T1_,@function
_ZN2at6native12_GLOBAL__N_124philox_single_key_kernelIN3c104HalfEZZZZNS0_21_philox_uniform_cuda_ERNS_6TensorERKS5_ddENKUlvE_clEvENKUlvE1_clEvENKUlvE_clEvEUlmmE0_ZZZNS0_21_philox_uniform_cuda_ES6_S8_ddENKS9_clEvENKSA_clEvEUlT_E_EEvPSD_PKmlT0_T1_: ; @_ZN2at6native12_GLOBAL__N_124philox_single_key_kernelIN3c104HalfEZZZZNS0_21_philox_uniform_cuda_ERNS_6TensorERKS5_ddENKUlvE_clEvENKUlvE1_clEvENKUlvE_clEvEUlmmE0_ZZZNS0_21_philox_uniform_cuda_ES6_S8_ddENKS9_clEvENKSA_clEvEUlT_E_EEvPSD_PKmlT0_T1_
; %bb.0:
	v_mov_b32_e32 v3, 0
	s_clause 0x2
	s_load_b64 s[12:13], s[2:3], 0x10
	s_load_b32 s8, s[2:3], 0x2c
	s_load_b128 s[4:7], s[2:3], 0x0
	s_bfe_u32 s9, ttmp6, 0x4000c
	s_getreg_b32 s10, hwreg(HW_REG_IB_STS2, 6, 4)
	s_add_co_i32 s9, s9, 1
	global_load_b32 v1, v3, s[2:3] offset:26
	s_wait_xcnt 0x0
	s_mov_b32 s3, 0
	s_mul_i32 s9, ttmp9, s9
	v_and_b32_e32 v2, 0x3ff, v0
	s_wait_kmcnt 0x0
	s_ashr_i32 s2, s13, 31
	s_and_b32 s14, s8, 0xffff
	s_lshr_b32 s2, s2, 30
	s_and_b32 s8, ttmp6, 15
	s_add_nc_u64 s[2:3], s[12:13], s[2:3]
	s_add_co_i32 s15, s8, s9
	s_ashr_i64 s[2:3], s[2:3], 2
	s_cmp_eq_u32 s10, 0
	s_load_b128 s[8:11], s[6:7], 0x0
	s_wait_xcnt 0x0
	s_cselect_b32 s6, ttmp9, s15
	s_wait_loadcnt 0x0
	v_lshrrev_b32_e32 v6, 16, v1
	v_mad_nc_u64_u32 v[4:5], s14, s6, v[2:3]
	s_mov_b32 s6, exec_lo
	s_delay_alu instid0(VALU_DEP_1)
	v_cmpx_gt_i64_e64 s[2:3], v[4:5]
	s_cbranch_execz .LBB4_2
; %bb.1:
	s_wait_kmcnt 0x0
	v_add_nc_u64_e32 v[8:9], s[10:11], v[4:5]
	v_mov_b32_e32 v11, v3
	s_mov_b64 s[14:15], 0xd2511f53
	v_dual_mov_b32 v13, v3 :: v_dual_mov_b32 v15, v3
	s_mov_b64 s[16:17], 0xcd9e8d57
	s_add_co_i32 s7, s9, 0xbb67ae85
	s_delay_alu instid0(VALU_DEP_3) | instskip(SKIP_1) | instid1(VALU_DEP_2)
	v_dual_mov_b32 v10, v8 :: v_dual_bitop2_b32 v14, s8, v9 bitop3:0x14
	v_mul_lo_u32 v3, 0xd2511f53, v8
	v_mul_u64_e32 v[10:11], s[14:15], v[10:11]
	s_delay_alu instid0(VALU_DEP_3) | instskip(NEXT) | instid1(VALU_DEP_2)
	v_mul_lo_u32 v8, 0xd2511f53, v14
	v_xor_b32_e32 v12, s9, v11
	v_mul_u64_e32 v[10:11], s[14:15], v[14:15]
	s_add_co_i32 s14, s8, 0x9e3779b9
	s_delay_alu instid0(VALU_DEP_2) | instskip(SKIP_3) | instid1(VALU_DEP_2)
	v_mul_u64_e32 v[16:17], s[16:17], v[12:13]
	v_mul_lo_u32 v9, 0xcd9e8d57, v12
	v_sub_f16_e32 v13, v6, v1
	v_cvt_f32_f16_e32 v12, v1
	v_cvt_f32_f16_e32 v14, v13
	v_xor3_b32 v3, v3, s7, v11
	s_add_co_i32 s7, s8, 0x3c6ef372
	v_xor_b32_e32 v7, s14, v17
	s_delay_alu instid0(VALU_DEP_2) | instskip(SKIP_2) | instid1(VALU_DEP_3)
	v_mul_hi_u32 v10, 0xcd9e8d57, v3
	s_add_co_i32 s14, s9, 0x76cf5d0a
	v_mul_lo_u32 v3, 0xcd9e8d57, v3
	v_mul_hi_u32 v11, 0xd2511f53, v7
	v_mul_lo_u32 v7, 0xd2511f53, v7
	s_delay_alu instid0(VALU_DEP_4) | instskip(SKIP_1) | instid1(VALU_DEP_3)
	v_xor3_b32 v9, v9, s7, v10
	s_add_co_i32 s7, s8, 0xdaa66d2b
	v_xor3_b32 v8, v8, s14, v11
	s_delay_alu instid0(VALU_DEP_2) | instskip(SKIP_2) | instid1(VALU_DEP_3)
	v_mul_hi_u32 v10, 0xd2511f53, v9
	s_add_co_i32 s14, s9, 0x32370b8f
	v_mul_lo_u32 v9, 0xd2511f53, v9
	v_mul_hi_u32 v11, 0xcd9e8d57, v8
	v_mul_lo_u32 v8, 0xcd9e8d57, v8
	s_delay_alu instid0(VALU_DEP_4) | instskip(SKIP_1) | instid1(VALU_DEP_3)
	v_xor3_b32 v7, v7, s14, v10
	s_add_co_i32 s14, s8, 0x78dde6e4
	v_xor3_b32 v3, v3, s7, v11
	;; [unrolled: 10-line block ×7, first 2 shown]
	s_delay_alu instid0(VALU_DEP_2) | instskip(SKIP_2) | instid1(VALU_DEP_3)
	v_mul_hi_u32 v11, 0xd2511f53, v8
	v_mul_lo_u32 v8, 0x753, v8
	s_add_co_i32 s7, s8, 0x781
	v_mul_hi_u32 v10, 0xcd9e8d57, v9
	v_mul_lo_u32 v9, 0x557, v9
	s_delay_alu instid0(VALU_DEP_4) | instskip(NEXT) | instid1(VALU_DEP_4)
	v_xor3_b32 v3, v3, s14, v11
	v_and_b32_e32 v8, 0x7ff, v8
	s_mov_b32 s14, 0x3a000000
	s_delay_alu instid0(VALU_DEP_4) | instskip(NEXT) | instid1(VALU_DEP_4)
	v_xor3_b32 v7, v7, s7, v10
	v_and_b32_e32 v10, 0x7ff, v9
	v_and_b32_e32 v3, 0x7ff, v3
	v_cvt_f32_u32_e32 v9, v8
	s_delay_alu instid0(VALU_DEP_4) | instskip(NEXT) | instid1(VALU_DEP_4)
	v_and_b32_e32 v7, 0x7ff, v7
	v_cvt_f32_u32_e32 v11, v10
	s_delay_alu instid0(VALU_DEP_4) | instskip(NEXT) | instid1(VALU_DEP_3)
	v_cvt_f32_u32_e32 v8, v3
	v_cvt_f32_u32_e32 v10, v7
	s_delay_alu instid0(VALU_DEP_2) | instskip(NEXT) | instid1(VALU_DEP_2)
	v_pk_mul_f32 v[8:9], v[8:9], s[14:15] op_sel_hi:[1,0]
	v_pk_mul_f32 v[10:11], v[10:11], s[14:15] op_sel_hi:[1,0]
	s_delay_alu instid0(VALU_DEP_2) | instskip(NEXT) | instid1(VALU_DEP_2)
	v_pk_fma_f32 v[8:9], v[8:9], v[14:15], v[12:13] op_sel_hi:[1,0,0]
	v_pk_fma_f32 v[10:11], v[10:11], v[14:15], v[12:13] op_sel_hi:[1,0,0]
	v_lshl_add_u64 v[12:13], v[4:5], 3, s[4:5]
	s_delay_alu instid0(VALU_DEP_2) | instskip(NEXT) | instid1(VALU_DEP_4)
	v_cvt_pk_f16_f32 v10, v10, v11
	v_cvt_pk_f16_f32 v11, v8, v9
	global_store_b64 v[12:13], v[10:11], off
.LBB4_2:
	s_wait_xcnt 0x0
	s_or_b32 exec_lo, exec_lo, s6
	s_delay_alu instid0(SALU_CYCLE_1)
	s_mov_b32 s6, exec_lo
	v_cmpx_eq_u64_e64 s[2:3], v[4:5]
	s_cbranch_execz .LBB4_11
; %bb.3:
	s_load_b64 s[6:7], s[0:1], 0x4
	s_wait_kmcnt 0x0
	s_add_nc_u64 s[10:11], s[10:11], s[2:3]
	s_mov_b64 s[14:15], 0xffffffff
	s_mov_b64 s[16:17], 0xd2511f53
	s_and_b64 s[14:15], s[10:11], s[14:15]
	s_mov_b32 s19, 0
	s_mul_u64 s[14:15], s[14:15], s[16:17]
	v_bfe_u32 v3, v0, 10, 10
	s_add_co_i32 s18, s9, 0xbb67ae85
	s_mul_i32 s26, s10, 0xd2511f53
	s_xor_b32 s10, s11, s8
	s_mov_b32 s11, s19
	s_xor_b64 s[14:15], s[14:15], s[8:9]
	s_mov_b64 s[20:21], 0xcd9e8d57
	s_mul_i32 s27, s10, 0xd2511f53
	s_mul_u64 s[10:11], s[10:11], s[16:17]
	s_add_co_i32 s23, s8, 0x9e3779b9
	s_add_co_i32 s24, s8, 0x3c6ef372
	;; [unrolled: 1-line block ×3, first 2 shown]
	v_bfe_u32 v0, v0, 20, 10
	s_lshr_b32 s6, s6, 16
	v_mul_u32_u24_e32 v3, s7, v3
	s_mul_i32 s6, s6, s7
	s_add_co_i32 s22, s8, 0x8ff34781
	v_mul_lo_u32 v2, s6, v2
	s_xor_b32 s6, s26, s18
	s_mov_b32 s18, s15
	s_xor_b32 s10, s6, s11
	s_mul_u64 s[6:7], s[18:19], s[20:21]
	s_mul_i32 s11, s15, 0xcd9e8d57
	s_xor_b32 s6, s23, s7
	s_mul_i32 s14, s10, 0xcd9e8d57
	s_mul_hi_u32 s7, s10, 0xcd9e8d57
	s_mul_i32 s10, s6, 0xd2511f53
	s_mul_hi_u32 s6, s6, 0xd2511f53
	s_xor_b32 s11, s11, s24
	s_xor_b32 s15, s27, s25
	s_xor_b32 s7, s11, s7
	s_xor_b32 s6, s15, s6
	s_add_co_i32 s11, s8, 0xdaa66d2b
	s_add_co_i32 s15, s9, 0x32370b8f
	s_mul_i32 s16, s7, 0xd2511f53
	s_mul_hi_u32 s7, s7, 0xd2511f53
	s_mul_i32 s17, s6, 0xcd9e8d57
	s_mul_hi_u32 s6, s6, 0xcd9e8d57
	s_xor_b32 s11, s14, s11
	s_xor_b32 s10, s10, s15
	s_xor_b32 s6, s11, s6
	s_xor_b32 s7, s10, s7
	s_add_co_i32 s10, s8, 0x78dde6e4
	s_add_co_i32 s11, s9, 0xed9eba14
	;; [unrolled: 10-line block ×6, first 2 shown]
	s_mul_i32 s11, s6, 0xd2511f53
	s_mul_hi_u32 s6, s6, 0xd2511f53
	s_mul_i32 s14, s7, 0xcd9e8d57
	s_mul_hi_u32 s7, s7, 0xcd9e8d57
	s_xor_b32 s8, s17, s8
	s_xor_b32 s10, s16, s10
	;; [unrolled: 1-line block ×4, first 2 shown]
	s_add_co_i32 s8, s9, 0x96a522ad
	v_add3_u32 v4, v2, v3, v0
	s_lshl_b64 s[0:1], s[2:3], 2
	s_mul_i32 s9, s7, 0xd2511f53
	s_mul_hi_u32 s7, s7, 0xd2511f53
	s_mul_i32 s10, s6, 0xcd9e8d57
	s_mul_hi_u32 s6, s6, 0xcd9e8d57
	s_xor_b32 s14, s14, s22
	s_xor_b32 s8, s11, s8
	;; [unrolled: 1-line block ×4, first 2 shown]
	s_sub_nc_u64 s[6:7], s[12:13], s[0:1]
	v_dual_mov_b32 v8, s11 :: v_dual_lshlrev_b32 v5, 4, v4
	v_cmp_lt_i64_e64 s11, s[6:7], 1
	v_dual_mov_b32 v9, s10 :: v_dual_mov_b32 v10, s8
	v_mov_b32_e32 v11, s9
	s_and_b32 vcc_lo, exec_lo, s11
	ds_store_b128 v5, v[8:11]
	s_cbranch_vccnz .LBB4_11
; %bb.4:
	v_sub_f16_e32 v0, v6, v1
	v_cvt_f32_f16_e32 v2, v1
	s_cmp_eq_u64 s[6:7], 1
	s_delay_alu instid0(VALU_DEP_2)
	v_cvt_f32_f16_e32 v0, v0
	s_cbranch_scc1 .LBB4_8
; %bb.5:
	s_lshl_b64 s[0:1], s[0:1], 1
	s_and_b64 s[8:9], s[12:13], 1
	s_delay_alu instid0(VALU_DEP_1)
	v_dual_mov_b32 v1, v0 :: v_dual_mov_b32 v3, v2
	v_mov_b32_e32 v6, 0
	s_add_nc_u64 s[10:11], s[4:5], s[0:1]
	s_sub_nc_u64 s[0:1], s[6:7], s[8:9]
	s_mov_b32 s12, 0x3a000000
	s_mov_b64 s[14:15], s[0:1]
.LBB4_6:                                ; =>This Inner Loop Header: Depth=1
	ds_load_b64 v[8:9], v5
	v_add_nc_u32_e32 v5, 8, v5
	s_add_nc_u64 s[14:15], s[14:15], -2
	s_delay_alu instid0(SALU_CYCLE_1) | instskip(SKIP_3) | instid1(VALU_DEP_2)
	s_cmp_lg_u64 s[14:15], 0
	s_wait_dscnt 0x0
	v_and_b32_e32 v7, 0x7ff, v9
	v_and_b32_e32 v8, 0x7ff, v8
	v_cvt_f32_u32_e32 v9, v7
	s_delay_alu instid0(VALU_DEP_2) | instskip(NEXT) | instid1(VALU_DEP_1)
	v_cvt_f32_u32_e32 v8, v8
	v_pk_mul_f32 v[8:9], v[8:9], s[12:13] op_sel_hi:[1,0]
	s_delay_alu instid0(VALU_DEP_1) | instskip(NEXT) | instid1(VALU_DEP_1)
	v_pk_fma_f32 v[8:9], v[8:9], v[0:1], v[2:3]
	v_cvt_pk_f16_f32 v7, v8, v9
	global_store_b32 v6, v7, s[10:11]
	s_wait_xcnt 0x0
	s_add_nc_u64 s[10:11], s[10:11], 4
	s_cbranch_scc1 .LBB4_6
; %bb.7:
	s_cmp_lg_u64 s[8:9], 0
	s_cselect_b32 s8, -1, 0
	s_delay_alu instid0(SALU_CYCLE_1)
	s_and_b32 vcc_lo, exec_lo, s8
	s_cbranch_vccnz .LBB4_9
	s_branch .LBB4_11
.LBB4_8:
	s_mov_b64 s[0:1], 0
	s_cbranch_execz .LBB4_11
.LBB4_9:
	v_dual_lshlrev_b32 v1, 4, v4 :: v_dual_mov_b32 v3, 0
	s_lshl_b64 s[2:3], s[2:3], 3
	s_lshl_b64 s[8:9], s[0:1], 1
	s_delay_alu instid0(SALU_CYCLE_1) | instskip(NEXT) | instid1(VALU_DEP_1)
	s_add_nc_u64 s[2:3], s[2:3], s[8:9]
	v_lshl_add_u32 v1, s0, 2, v1
	s_add_nc_u64 s[2:3], s[4:5], s[2:3]
.LBB4_10:                               ; =>This Inner Loop Header: Depth=1
	ds_load_b32 v4, v1
	s_add_nc_u64 s[0:1], s[0:1], 1
	v_add_nc_u32_e32 v1, 4, v1
	v_cmp_gt_i64_e64 s4, s[6:7], s[0:1]
	s_and_b32 vcc_lo, exec_lo, s4
	s_wait_dscnt 0x0
	v_and_b32_e32 v4, 0x7ff, v4
	s_delay_alu instid0(VALU_DEP_1) | instskip(NEXT) | instid1(VALU_DEP_1)
	v_cvt_f32_u32_e32 v4, v4
	v_mul_f32_e32 v4, 0x3a000000, v4
	s_delay_alu instid0(VALU_DEP_1)
	v_fma_mixlo_f16 v4, v4, v0, v2
	global_store_b16 v3, v4, s[2:3]
	s_wait_xcnt 0x0
	s_add_nc_u64 s[2:3], s[2:3], 2
	s_cbranch_vccnz .LBB4_10
.LBB4_11:
	s_endpgm
	.section	.rodata,"a",@progbits
	.p2align	6, 0x0
	.amdhsa_kernel _ZN2at6native12_GLOBAL__N_124philox_single_key_kernelIN3c104HalfEZZZZNS0_21_philox_uniform_cuda_ERNS_6TensorERKS5_ddENKUlvE_clEvENKUlvE1_clEvENKUlvE_clEvEUlmmE0_ZZZNS0_21_philox_uniform_cuda_ES6_S8_ddENKS9_clEvENKSA_clEvEUlT_E_EEvPSD_PKmlT0_T1_
		.amdhsa_group_segment_fixed_size 16384
		.amdhsa_private_segment_fixed_size 0
		.amdhsa_kernarg_size 288
		.amdhsa_user_sgpr_count 4
		.amdhsa_user_sgpr_dispatch_ptr 1
		.amdhsa_user_sgpr_queue_ptr 0
		.amdhsa_user_sgpr_kernarg_segment_ptr 1
		.amdhsa_user_sgpr_dispatch_id 0
		.amdhsa_user_sgpr_kernarg_preload_length 0
		.amdhsa_user_sgpr_kernarg_preload_offset 0
		.amdhsa_user_sgpr_private_segment_size 0
		.amdhsa_wavefront_size32 1
		.amdhsa_uses_dynamic_stack 0
		.amdhsa_enable_private_segment 0
		.amdhsa_system_sgpr_workgroup_id_x 1
		.amdhsa_system_sgpr_workgroup_id_y 0
		.amdhsa_system_sgpr_workgroup_id_z 0
		.amdhsa_system_sgpr_workgroup_info 0
		.amdhsa_system_vgpr_workitem_id 2
		.amdhsa_next_free_vgpr 18
		.amdhsa_next_free_sgpr 28
		.amdhsa_named_barrier_count 0
		.amdhsa_reserve_vcc 1
		.amdhsa_float_round_mode_32 0
		.amdhsa_float_round_mode_16_64 0
		.amdhsa_float_denorm_mode_32 3
		.amdhsa_float_denorm_mode_16_64 3
		.amdhsa_fp16_overflow 0
		.amdhsa_memory_ordered 1
		.amdhsa_forward_progress 1
		.amdhsa_inst_pref_size 18
		.amdhsa_round_robin_scheduling 0
		.amdhsa_exception_fp_ieee_invalid_op 0
		.amdhsa_exception_fp_denorm_src 0
		.amdhsa_exception_fp_ieee_div_zero 0
		.amdhsa_exception_fp_ieee_overflow 0
		.amdhsa_exception_fp_ieee_underflow 0
		.amdhsa_exception_fp_ieee_inexact 0
		.amdhsa_exception_int_div_zero 0
	.end_amdhsa_kernel
	.section	.text._ZN2at6native12_GLOBAL__N_124philox_single_key_kernelIN3c104HalfEZZZZNS0_21_philox_uniform_cuda_ERNS_6TensorERKS5_ddENKUlvE_clEvENKUlvE1_clEvENKUlvE_clEvEUlmmE0_ZZZNS0_21_philox_uniform_cuda_ES6_S8_ddENKS9_clEvENKSA_clEvEUlT_E_EEvPSD_PKmlT0_T1_,"axG",@progbits,_ZN2at6native12_GLOBAL__N_124philox_single_key_kernelIN3c104HalfEZZZZNS0_21_philox_uniform_cuda_ERNS_6TensorERKS5_ddENKUlvE_clEvENKUlvE1_clEvENKUlvE_clEvEUlmmE0_ZZZNS0_21_philox_uniform_cuda_ES6_S8_ddENKS9_clEvENKSA_clEvEUlT_E_EEvPSD_PKmlT0_T1_,comdat
.Lfunc_end4:
	.size	_ZN2at6native12_GLOBAL__N_124philox_single_key_kernelIN3c104HalfEZZZZNS0_21_philox_uniform_cuda_ERNS_6TensorERKS5_ddENKUlvE_clEvENKUlvE1_clEvENKUlvE_clEvEUlmmE0_ZZZNS0_21_philox_uniform_cuda_ES6_S8_ddENKS9_clEvENKSA_clEvEUlT_E_EEvPSD_PKmlT0_T1_, .Lfunc_end4-_ZN2at6native12_GLOBAL__N_124philox_single_key_kernelIN3c104HalfEZZZZNS0_21_philox_uniform_cuda_ERNS_6TensorERKS5_ddENKUlvE_clEvENKUlvE1_clEvENKUlvE_clEvEUlmmE0_ZZZNS0_21_philox_uniform_cuda_ES6_S8_ddENKS9_clEvENKSA_clEvEUlT_E_EEvPSD_PKmlT0_T1_
                                        ; -- End function
	.set _ZN2at6native12_GLOBAL__N_124philox_single_key_kernelIN3c104HalfEZZZZNS0_21_philox_uniform_cuda_ERNS_6TensorERKS5_ddENKUlvE_clEvENKUlvE1_clEvENKUlvE_clEvEUlmmE0_ZZZNS0_21_philox_uniform_cuda_ES6_S8_ddENKS9_clEvENKSA_clEvEUlT_E_EEvPSD_PKmlT0_T1_.num_vgpr, 18
	.set _ZN2at6native12_GLOBAL__N_124philox_single_key_kernelIN3c104HalfEZZZZNS0_21_philox_uniform_cuda_ERNS_6TensorERKS5_ddENKUlvE_clEvENKUlvE1_clEvENKUlvE_clEvEUlmmE0_ZZZNS0_21_philox_uniform_cuda_ES6_S8_ddENKS9_clEvENKSA_clEvEUlT_E_EEvPSD_PKmlT0_T1_.num_agpr, 0
	.set _ZN2at6native12_GLOBAL__N_124philox_single_key_kernelIN3c104HalfEZZZZNS0_21_philox_uniform_cuda_ERNS_6TensorERKS5_ddENKUlvE_clEvENKUlvE1_clEvENKUlvE_clEvEUlmmE0_ZZZNS0_21_philox_uniform_cuda_ES6_S8_ddENKS9_clEvENKSA_clEvEUlT_E_EEvPSD_PKmlT0_T1_.numbered_sgpr, 28
	.set _ZN2at6native12_GLOBAL__N_124philox_single_key_kernelIN3c104HalfEZZZZNS0_21_philox_uniform_cuda_ERNS_6TensorERKS5_ddENKUlvE_clEvENKUlvE1_clEvENKUlvE_clEvEUlmmE0_ZZZNS0_21_philox_uniform_cuda_ES6_S8_ddENKS9_clEvENKSA_clEvEUlT_E_EEvPSD_PKmlT0_T1_.num_named_barrier, 0
	.set _ZN2at6native12_GLOBAL__N_124philox_single_key_kernelIN3c104HalfEZZZZNS0_21_philox_uniform_cuda_ERNS_6TensorERKS5_ddENKUlvE_clEvENKUlvE1_clEvENKUlvE_clEvEUlmmE0_ZZZNS0_21_philox_uniform_cuda_ES6_S8_ddENKS9_clEvENKSA_clEvEUlT_E_EEvPSD_PKmlT0_T1_.private_seg_size, 0
	.set _ZN2at6native12_GLOBAL__N_124philox_single_key_kernelIN3c104HalfEZZZZNS0_21_philox_uniform_cuda_ERNS_6TensorERKS5_ddENKUlvE_clEvENKUlvE1_clEvENKUlvE_clEvEUlmmE0_ZZZNS0_21_philox_uniform_cuda_ES6_S8_ddENKS9_clEvENKSA_clEvEUlT_E_EEvPSD_PKmlT0_T1_.uses_vcc, 1
	.set _ZN2at6native12_GLOBAL__N_124philox_single_key_kernelIN3c104HalfEZZZZNS0_21_philox_uniform_cuda_ERNS_6TensorERKS5_ddENKUlvE_clEvENKUlvE1_clEvENKUlvE_clEvEUlmmE0_ZZZNS0_21_philox_uniform_cuda_ES6_S8_ddENKS9_clEvENKSA_clEvEUlT_E_EEvPSD_PKmlT0_T1_.uses_flat_scratch, 0
	.set _ZN2at6native12_GLOBAL__N_124philox_single_key_kernelIN3c104HalfEZZZZNS0_21_philox_uniform_cuda_ERNS_6TensorERKS5_ddENKUlvE_clEvENKUlvE1_clEvENKUlvE_clEvEUlmmE0_ZZZNS0_21_philox_uniform_cuda_ES6_S8_ddENKS9_clEvENKSA_clEvEUlT_E_EEvPSD_PKmlT0_T1_.has_dyn_sized_stack, 0
	.set _ZN2at6native12_GLOBAL__N_124philox_single_key_kernelIN3c104HalfEZZZZNS0_21_philox_uniform_cuda_ERNS_6TensorERKS5_ddENKUlvE_clEvENKUlvE1_clEvENKUlvE_clEvEUlmmE0_ZZZNS0_21_philox_uniform_cuda_ES6_S8_ddENKS9_clEvENKSA_clEvEUlT_E_EEvPSD_PKmlT0_T1_.has_recursion, 0
	.set _ZN2at6native12_GLOBAL__N_124philox_single_key_kernelIN3c104HalfEZZZZNS0_21_philox_uniform_cuda_ERNS_6TensorERKS5_ddENKUlvE_clEvENKUlvE1_clEvENKUlvE_clEvEUlmmE0_ZZZNS0_21_philox_uniform_cuda_ES6_S8_ddENKS9_clEvENKSA_clEvEUlT_E_EEvPSD_PKmlT0_T1_.has_indirect_call, 0
	.section	.AMDGPU.csdata,"",@progbits
; Kernel info:
; codeLenInByte = 2292
; TotalNumSgprs: 30
; NumVgprs: 18
; ScratchSize: 0
; MemoryBound: 0
; FloatMode: 240
; IeeeMode: 1
; LDSByteSize: 16384 bytes/workgroup (compile time only)
; SGPRBlocks: 0
; VGPRBlocks: 1
; NumSGPRsForWavesPerEU: 30
; NumVGPRsForWavesPerEU: 18
; NamedBarCnt: 0
; Occupancy: 16
; WaveLimiterHint : 0
; COMPUTE_PGM_RSRC2:SCRATCH_EN: 0
; COMPUTE_PGM_RSRC2:USER_SGPR: 4
; COMPUTE_PGM_RSRC2:TRAP_HANDLER: 0
; COMPUTE_PGM_RSRC2:TGID_X_EN: 1
; COMPUTE_PGM_RSRC2:TGID_Y_EN: 0
; COMPUTE_PGM_RSRC2:TGID_Z_EN: 0
; COMPUTE_PGM_RSRC2:TIDIG_COMP_CNT: 2
	.section	.text._ZN2at6native12_GLOBAL__N_123philox_multi_key_kernelIN3c104HalfEZZZZNS0_21_philox_uniform_cuda_ERNS_6TensorERKS5_ddENKUlvE_clEvENKUlvE1_clEvENKUlvE_clEvEUlmmE0_ZZZNS0_21_philox_uniform_cuda_ES6_S8_ddENKS9_clEvENKSA_clEvEUlT_E_EEvPSD_PKmllT0_T1_16OffsetCalculatorILi1EjLb0EE,"axG",@progbits,_ZN2at6native12_GLOBAL__N_123philox_multi_key_kernelIN3c104HalfEZZZZNS0_21_philox_uniform_cuda_ERNS_6TensorERKS5_ddENKUlvE_clEvENKUlvE1_clEvENKUlvE_clEvEUlmmE0_ZZZNS0_21_philox_uniform_cuda_ES6_S8_ddENKS9_clEvENKSA_clEvEUlT_E_EEvPSD_PKmllT0_T1_16OffsetCalculatorILi1EjLb0EE,comdat
	.globl	_ZN2at6native12_GLOBAL__N_123philox_multi_key_kernelIN3c104HalfEZZZZNS0_21_philox_uniform_cuda_ERNS_6TensorERKS5_ddENKUlvE_clEvENKUlvE1_clEvENKUlvE_clEvEUlmmE0_ZZZNS0_21_philox_uniform_cuda_ES6_S8_ddENKS9_clEvENKSA_clEvEUlT_E_EEvPSD_PKmllT0_T1_16OffsetCalculatorILi1EjLb0EE ; -- Begin function _ZN2at6native12_GLOBAL__N_123philox_multi_key_kernelIN3c104HalfEZZZZNS0_21_philox_uniform_cuda_ERNS_6TensorERKS5_ddENKUlvE_clEvENKUlvE1_clEvENKUlvE_clEvEUlmmE0_ZZZNS0_21_philox_uniform_cuda_ES6_S8_ddENKS9_clEvENKSA_clEvEUlT_E_EEvPSD_PKmllT0_T1_16OffsetCalculatorILi1EjLb0EE
	.p2align	8
	.type	_ZN2at6native12_GLOBAL__N_123philox_multi_key_kernelIN3c104HalfEZZZZNS0_21_philox_uniform_cuda_ERNS_6TensorERKS5_ddENKUlvE_clEvENKUlvE1_clEvENKUlvE_clEvEUlmmE0_ZZZNS0_21_philox_uniform_cuda_ES6_S8_ddENKS9_clEvENKSA_clEvEUlT_E_EEvPSD_PKmllT0_T1_16OffsetCalculatorILi1EjLb0EE,@function
_ZN2at6native12_GLOBAL__N_123philox_multi_key_kernelIN3c104HalfEZZZZNS0_21_philox_uniform_cuda_ERNS_6TensorERKS5_ddENKUlvE_clEvENKUlvE1_clEvENKUlvE_clEvEUlmmE0_ZZZNS0_21_philox_uniform_cuda_ES6_S8_ddENKS9_clEvENKSA_clEvEUlT_E_EEvPSD_PKmllT0_T1_16OffsetCalculatorILi1EjLb0EE: ; @_ZN2at6native12_GLOBAL__N_123philox_multi_key_kernelIN3c104HalfEZZZZNS0_21_philox_uniform_cuda_ERNS_6TensorERKS5_ddENKUlvE_clEvENKUlvE1_clEvENKUlvE_clEvEUlmmE0_ZZZNS0_21_philox_uniform_cuda_ES6_S8_ddENKS9_clEvENKSA_clEvEUlT_E_EEvPSD_PKmllT0_T1_16OffsetCalculatorILi1EjLb0EE
; %bb.0:
	s_clause 0x1
	s_load_b128 s[4:7], s[0:1], 0x10
	s_load_b32 s10, s[0:1], 0x13c
	s_bfe_u32 s2, ttmp6, 0x4000c
	v_mov_b32_e32 v2, 0
	s_add_co_i32 s2, s2, 1
	s_mov_b32 s3, 0
	s_mul_i32 s14, ttmp9, s2
	s_and_b32 s11, ttmp6, 15
	s_getreg_b32 s12, hwreg(HW_REG_IB_STS2, 6, 4)
	v_mov_b32_e32 v1, v2
	s_add_co_i32 s11, s11, s14
	s_wait_kmcnt 0x0
	s_add_nc_u64 s[8:9], s[6:7], 3
	s_and_b32 s10, s10, 0xffff
	s_ashr_i32 s13, s9, 31
	s_delay_alu instid0(SALU_CYCLE_1) | instskip(NEXT) | instid1(SALU_CYCLE_1)
	s_lshr_b32 s2, s13, 30
	s_add_nc_u64 s[2:3], s[8:9], s[2:3]
	s_delay_alu instid0(SALU_CYCLE_1) | instskip(SKIP_2) | instid1(SALU_CYCLE_1)
	s_ashr_i64 s[8:9], s[2:3], 2
	s_cmp_eq_u32 s12, 0
	s_cselect_b32 s2, ttmp9, s11
	v_mad_nc_u64_u32 v[0:1], s10, s2, v[0:1]
	s_mul_u64 s[2:3], s[8:9], s[4:5]
	s_delay_alu instid0(VALU_DEP_1) | instid1(SALU_CYCLE_1)
	v_cmp_gt_i64_e32 vcc_lo, s[2:3], v[0:1]
	s_and_saveexec_b32 s2, vcc_lo
	s_cbranch_execz .LBB5_22
; %bb.1:
	global_load_b32 v4, v2, s[0:1] offset:34
	v_or_b32_e32 v3, s9, v1
	s_delay_alu instid0(VALU_DEP_1) | instskip(SKIP_3) | instid1(SALU_CYCLE_1)
	v_cmp_ne_u64_e32 vcc_lo, 0, v[2:3]
                                        ; implicit-def: $vgpr2_vgpr3
	s_wait_loadcnt 0x0
	v_readfirstlane_b32 s16, v4
	s_and_saveexec_b32 s2, vcc_lo
	s_xor_b32 s3, exec_lo, s2
	s_cbranch_execz .LBB5_3
; %bb.2:
	s_ashr_i32 s4, s9, 31
	s_mov_b32 s21, 0
	s_mov_b32 s5, s4
	v_dual_mov_b32 v7, 0 :: v_dual_ashrrev_i32 v2, 31, v1
	s_add_nc_u64 s[10:11], s[8:9], s[4:5]
	s_delay_alu instid0(SALU_CYCLE_1) | instskip(NEXT) | instid1(VALU_DEP_1)
	s_xor_b64 s[10:11], s[10:11], s[4:5]
	v_mov_b32_e32 v3, v2
	s_cvt_f32_u32 s2, s10
	s_cvt_f32_u32 s5, s11
	s_sub_nc_u64 s[14:15], 0, s[10:11]
	s_delay_alu instid0(VALU_DEP_1) | instskip(NEXT) | instid1(SALU_CYCLE_1)
	v_add_nc_u64_e32 v[4:5], v[0:1], v[2:3]
	s_fmamk_f32 s2, s5, 0x4f800000, s2
	v_mov_b32_e32 v9, v7
	s_delay_alu instid0(SALU_CYCLE_2) | instskip(NEXT) | instid1(VALU_DEP_2)
	v_s_rcp_f32 s2, s2
	v_xor_b32_e32 v6, v4, v2
	s_delay_alu instid0(VALU_DEP_3) | instskip(SKIP_1) | instid1(TRANS32_DEP_1)
	v_dual_mov_b32 v15, v7 :: v_dual_bitop2_b32 v8, v5, v2 bitop3:0x14
	v_xor_b32_e32 v2, s4, v2
	s_mul_f32 s2, s2, 0x5f7ffffc
	s_delay_alu instid0(SALU_CYCLE_3) | instskip(NEXT) | instid1(SALU_CYCLE_3)
	s_mul_f32 s5, s2, 0x2f800000
	s_trunc_f32 s5, s5
	s_delay_alu instid0(SALU_CYCLE_3) | instskip(SKIP_1) | instid1(SALU_CYCLE_2)
	s_fmamk_f32 s2, s5, 0xcf800000, s2
	s_cvt_u32_f32 s13, s5
	s_cvt_u32_f32 s12, s2
	s_delay_alu instid0(SALU_CYCLE_3) | instskip(NEXT) | instid1(SALU_CYCLE_1)
	s_mul_u64 s[18:19], s[14:15], s[12:13]
	s_mul_hi_u32 s23, s12, s19
	s_mul_i32 s22, s12, s19
	s_mul_hi_u32 s20, s12, s18
	s_mul_i32 s5, s13, s18
	s_add_nc_u64 s[22:23], s[20:21], s[22:23]
	s_mul_hi_u32 s2, s13, s18
	s_mul_hi_u32 s17, s13, s19
	s_add_co_u32 s5, s22, s5
	s_add_co_ci_u32 s20, s23, s2
	s_mul_i32 s18, s13, s19
	s_add_co_ci_u32 s19, s17, 0
	s_delay_alu instid0(SALU_CYCLE_1) | instskip(NEXT) | instid1(SALU_CYCLE_1)
	s_add_nc_u64 s[18:19], s[20:21], s[18:19]
	s_add_co_u32 s12, s12, s18
	s_cselect_b32 s2, -1, 0
	s_delay_alu instid0(SALU_CYCLE_1) | instskip(SKIP_1) | instid1(SALU_CYCLE_1)
	s_cmp_lg_u32 s2, 0
	s_add_co_ci_u32 s13, s13, s19
	s_mul_u64 s[14:15], s[14:15], s[12:13]
	s_delay_alu instid0(SALU_CYCLE_1)
	s_mul_hi_u32 s19, s12, s15
	s_mul_i32 s18, s12, s15
	s_mul_hi_u32 s20, s12, s14
	s_mul_i32 s5, s13, s14
	s_add_nc_u64 s[18:19], s[20:21], s[18:19]
	s_mul_hi_u32 s2, s13, s14
	s_mul_hi_u32 s17, s13, s15
	s_add_co_u32 s5, s18, s5
	s_add_co_ci_u32 s20, s19, s2
	s_mul_i32 s14, s13, s15
	s_add_co_ci_u32 s15, s17, 0
	s_delay_alu instid0(SALU_CYCLE_1) | instskip(NEXT) | instid1(SALU_CYCLE_1)
	s_add_nc_u64 s[14:15], s[20:21], s[14:15]
	s_add_co_u32 s2, s12, s14
	s_cselect_b32 s5, -1, 0
	v_mul_hi_u32 v14, v6, s2
	s_cmp_lg_u32 s5, 0
	s_add_co_ci_u32 s20, s13, s15
	s_mov_b64 s[12:13], 0xffffffff
	v_mul_u64_e32 v[10:11], s[20:21], v[6:7]
	s_and_b64 s[12:13], s[2:3], s[12:13]
	v_mul_u64_e32 v[12:13], s[20:21], v[8:9]
	v_mul_u64_e32 v[4:5], s[12:13], v[8:9]
	s_delay_alu instid0(VALU_DEP_3) | instskip(NEXT) | instid1(VALU_DEP_1)
	v_add_nc_u64_e32 v[10:11], v[14:15], v[10:11]
	v_add_co_u32 v3, vcc_lo, v10, v4
	s_delay_alu instid0(VALU_DEP_2) | instskip(SKIP_1) | instid1(VALU_DEP_1)
	v_add_co_ci_u32_e32 v14, vcc_lo, v11, v5, vcc_lo
	v_add_co_ci_u32_e32 v13, vcc_lo, 0, v13, vcc_lo
	v_add_nc_u64_e32 v[4:5], v[14:15], v[12:13]
	s_delay_alu instid0(VALU_DEP_1) | instskip(NEXT) | instid1(VALU_DEP_1)
	v_mul_u64_e32 v[10:11], s[10:11], v[4:5]
	v_sub_nc_u32_e32 v3, v8, v11
	s_delay_alu instid0(VALU_DEP_2) | instskip(NEXT) | instid1(VALU_DEP_1)
	v_sub_co_u32 v6, vcc_lo, v6, v10
	v_sub_co_ci_u32_e64 v10, null, v8, v11, vcc_lo
	s_delay_alu instid0(VALU_DEP_3) | instskip(NEXT) | instid1(VALU_DEP_3)
	v_subrev_co_ci_u32_e64 v3, null, s11, v3, vcc_lo
	v_sub_co_u32 v7, s2, v6, s10
	s_delay_alu instid0(VALU_DEP_1) | instskip(NEXT) | instid1(VALU_DEP_2)
	v_subrev_co_ci_u32_e64 v3, null, 0, v3, s2
	v_cmp_le_u32_e32 vcc_lo, s10, v7
	v_cndmask_b32_e64 v7, 0, -1, vcc_lo
	s_delay_alu instid0(VALU_DEP_3)
	v_cmp_le_u32_e32 vcc_lo, s11, v3
	v_cndmask_b32_e64 v8, 0, -1, vcc_lo
	v_cmp_le_u32_e32 vcc_lo, s10, v6
	v_cndmask_b32_e64 v11, 0, -1, vcc_lo
	;; [unrolled: 2-line block ×3, first 2 shown]
	v_cmp_eq_u32_e32 vcc_lo, s11, v3
	v_cndmask_b32_e32 v3, v8, v7, vcc_lo
	v_cmp_eq_u32_e32 vcc_lo, s11, v10
	v_add_nc_u64_e32 v[6:7], 2, v[4:5]
	v_add_nc_u64_e32 v[8:9], 1, v[4:5]
	v_cndmask_b32_e32 v10, v12, v11, vcc_lo
	v_cmp_ne_u32_e32 vcc_lo, 0, v3
	s_delay_alu instid0(VALU_DEP_2) | instskip(NEXT) | instid1(VALU_DEP_4)
	v_cmp_ne_u32_e64 s2, 0, v10
	v_dual_cndmask_b32 v6, v8, v6 :: v_dual_cndmask_b32 v3, v9, v7
	s_delay_alu instid0(VALU_DEP_1) | instskip(NEXT) | instid1(VALU_DEP_1)
	v_dual_cndmask_b32 v4, v4, v6, s2 :: v_dual_cndmask_b32 v5, v5, v3, s2
	v_dual_mov_b32 v3, v2 :: v_dual_bitop2_b32 v4, v4, v2 bitop3:0x14
	s_delay_alu instid0(VALU_DEP_2) | instskip(NEXT) | instid1(VALU_DEP_1)
	v_xor_b32_e32 v5, v5, v2
	v_sub_nc_u64_e32 v[2:3], v[4:5], v[2:3]
.LBB5_3:
	s_and_not1_saveexec_b32 s2, s3
	s_cbranch_execz .LBB5_5
; %bb.4:
	v_cvt_f32_u32_e32 v2, s8
	s_sub_co_i32 s3, 0, s8
	s_delay_alu instid0(VALU_DEP_1) | instskip(SKIP_1) | instid1(TRANS32_DEP_1)
	v_rcp_iflag_f32_e32 v2, v2
	v_nop
	v_mul_f32_e32 v2, 0x4f7ffffe, v2
	s_delay_alu instid0(VALU_DEP_1) | instskip(NEXT) | instid1(VALU_DEP_1)
	v_cvt_u32_f32_e32 v2, v2
	v_mul_lo_u32 v3, s3, v2
	s_delay_alu instid0(VALU_DEP_1) | instskip(NEXT) | instid1(VALU_DEP_1)
	v_mul_hi_u32 v3, v2, v3
	v_add_nc_u32_e32 v2, v2, v3
	s_delay_alu instid0(VALU_DEP_1) | instskip(NEXT) | instid1(VALU_DEP_1)
	v_mul_hi_u32 v2, v0, v2
	v_mul_lo_u32 v3, v2, s8
	s_delay_alu instid0(VALU_DEP_1) | instskip(NEXT) | instid1(VALU_DEP_1)
	v_dual_add_nc_u32 v4, 1, v2 :: v_dual_sub_nc_u32 v3, v0, v3
	v_subrev_nc_u32_e32 v5, s8, v3
	v_cmp_le_u32_e32 vcc_lo, s8, v3
	s_delay_alu instid0(VALU_DEP_2) | instskip(NEXT) | instid1(VALU_DEP_1)
	v_dual_cndmask_b32 v3, v3, v5 :: v_dual_cndmask_b32 v2, v2, v4
	v_cmp_le_u32_e32 vcc_lo, s8, v3
	s_delay_alu instid0(VALU_DEP_2) | instskip(NEXT) | instid1(VALU_DEP_1)
	v_dual_mov_b32 v3, 0 :: v_dual_add_nc_u32 v4, 1, v2
	v_cndmask_b32_e32 v2, v2, v4, vcc_lo
.LBB5_5:
	s_or_b32 exec_lo, exec_lo, s2
	s_clause 0x1
	s_load_b32 s17, s[0:1], 0x28
	s_load_b64 s[2:3], s[0:1], 0x8
	s_add_nc_u64 s[4:5], s[0:1], 40
	s_mov_b32 s18, -1
                                        ; implicit-def: $vgpr6
	s_wait_kmcnt 0x0
	s_add_co_i32 s10, s17, -1
	s_delay_alu instid0(SALU_CYCLE_1)
	s_cmp_lt_u32 s10, 2
	s_cbranch_scc1 .LBB5_15
; %bb.6:
	s_cmp_lg_u32 s17, 0
	s_mov_b32 s18, 0
	s_cbranch_scc0 .LBB5_11
; %bb.7:
	s_min_u32 s11, s10, 15
	s_delay_alu instid0(SALU_CYCLE_1)
	s_add_co_i32 s11, s11, 1
	s_cmp_eq_u32 s10, 2
	s_cbranch_scc1 .LBB5_12
; %bb.8:
	v_dual_mov_b32 v6, 0 :: v_dual_mov_b32 v4, v2
	s_and_b32 s10, s11, 28
	s_add_nc_u64 s[12:13], s[4:5], 0xc4
	s_mov_b32 s19, 0
	s_mov_b64 s[14:15], s[4:5]
.LBB5_9:                                ; =>This Inner Loop Header: Depth=1
	s_clause 0x1
	s_load_b256 s[20:27], s[14:15], 0x4
	s_load_b128 s[28:31], s[14:15], 0x24
	s_load_b128 s[36:39], s[12:13], 0x0
	s_add_co_i32 s19, s19, 4
	s_wait_xcnt 0x0
	s_add_nc_u64 s[14:15], s[14:15], 48
	s_cmp_lg_u32 s10, s19
	s_add_nc_u64 s[12:13], s[12:13], 16
	s_wait_kmcnt 0x0
	v_mul_hi_u32 v5, s21, v4
	s_delay_alu instid0(VALU_DEP_1) | instskip(NEXT) | instid1(VALU_DEP_1)
	v_add_nc_u32_e32 v5, v4, v5
	v_lshrrev_b32_e32 v5, s22, v5
	s_delay_alu instid0(VALU_DEP_1) | instskip(NEXT) | instid1(VALU_DEP_1)
	v_mul_hi_u32 v7, s24, v5
	v_add_nc_u32_e32 v7, v5, v7
	s_delay_alu instid0(VALU_DEP_1) | instskip(NEXT) | instid1(VALU_DEP_1)
	v_lshrrev_b32_e32 v7, s25, v7
	v_mul_hi_u32 v8, s27, v7
	s_delay_alu instid0(VALU_DEP_1) | instskip(SKIP_1) | instid1(VALU_DEP_2)
	v_add_nc_u32_e32 v8, v7, v8
	v_mul_lo_u32 v9, v5, s20
	v_lshrrev_b32_e32 v8, s28, v8
	s_delay_alu instid0(VALU_DEP_1) | instskip(NEXT) | instid1(VALU_DEP_3)
	v_mul_hi_u32 v10, s30, v8
	v_sub_nc_u32_e32 v4, v4, v9
	v_mul_lo_u32 v9, v7, s23
	s_delay_alu instid0(VALU_DEP_1) | instskip(NEXT) | instid1(VALU_DEP_3)
	v_sub_nc_u32_e32 v5, v5, v9
	v_mad_u32 v4, v4, s36, v6
	v_mul_lo_u32 v6, v8, s26
	v_add_nc_u32_e32 v9, v8, v10
	s_delay_alu instid0(VALU_DEP_3) | instskip(NEXT) | instid1(VALU_DEP_2)
	v_mad_u32 v5, v5, s37, v4
	v_dual_lshrrev_b32 v4, s31, v9 :: v_dual_sub_nc_u32 v6, v7, v6
	s_delay_alu instid0(VALU_DEP_1) | instskip(NEXT) | instid1(VALU_DEP_2)
	v_mul_lo_u32 v7, v4, s29
	v_mad_u32 v5, v6, s38, v5
	s_delay_alu instid0(VALU_DEP_2) | instskip(NEXT) | instid1(VALU_DEP_1)
	v_sub_nc_u32_e32 v6, v8, v7
	v_mad_u32 v6, v6, s39, v5
	s_cbranch_scc1 .LBB5_9
; %bb.10:
	s_and_b32 s14, s11, 3
	s_mov_b32 s11, 0
	s_cmp_eq_u32 s14, 0
	s_cbranch_scc0 .LBB5_13
	s_branch .LBB5_15
.LBB5_11:
	v_mov_b32_e32 v6, 0
	s_branch .LBB5_15
.LBB5_12:
	v_dual_mov_b32 v6, 0 :: v_dual_mov_b32 v4, v2
	s_mov_b32 s10, 0
	s_and_b32 s14, s11, 3
	s_mov_b32 s11, 0
	s_cmp_eq_u32 s14, 0
	s_cbranch_scc1 .LBB5_15
.LBB5_13:
	s_lshl_b32 s12, s10, 2
	s_mov_b32 s13, s11
	s_mul_u64 s[20:21], s[10:11], 12
	s_add_nc_u64 s[12:13], s[4:5], s[12:13]
	s_delay_alu instid0(SALU_CYCLE_1)
	s_add_nc_u64 s[10:11], s[12:13], 0xc4
	s_add_nc_u64 s[12:13], s[4:5], s[20:21]
.LBB5_14:                               ; =>This Inner Loop Header: Depth=1
	s_load_b96 s[20:22], s[12:13], 0x4
	s_load_b32 s15, s[10:11], 0x0
	s_add_co_i32 s14, s14, -1
	s_wait_xcnt 0x0
	s_add_nc_u64 s[12:13], s[12:13], 12
	s_cmp_lg_u32 s14, 0
	s_add_nc_u64 s[10:11], s[10:11], 4
	s_wait_kmcnt 0x0
	v_mul_hi_u32 v5, s21, v4
	s_delay_alu instid0(VALU_DEP_1) | instskip(NEXT) | instid1(VALU_DEP_1)
	v_add_nc_u32_e32 v5, v4, v5
	v_lshrrev_b32_e32 v5, s22, v5
	s_delay_alu instid0(VALU_DEP_1) | instskip(NEXT) | instid1(VALU_DEP_1)
	v_mul_lo_u32 v7, v5, s20
	v_sub_nc_u32_e32 v4, v4, v7
	s_delay_alu instid0(VALU_DEP_1)
	v_mad_u32 v6, v4, s15, v6
	v_mov_b32_e32 v4, v5
	s_cbranch_scc1 .LBB5_14
.LBB5_15:
	s_and_not1_b32 vcc_lo, exec_lo, s18
	s_cbranch_vccnz .LBB5_18
; %bb.16:
	s_clause 0x1
	s_load_b96 s[12:14], s[4:5], 0x4
	s_load_b32 s15, s[4:5], 0xc4
	v_dual_mov_b32 v5, 0 :: v_dual_mov_b32 v4, v2
	s_mov_b32 s11, 0
	s_cmp_lt_u32 s17, 2
	s_wait_kmcnt 0x0
	s_mov_b32 s10, s13
	s_delay_alu instid0(SALU_CYCLE_1) | instskip(NEXT) | instid1(VALU_DEP_1)
	v_mul_u64_e32 v[4:5], s[10:11], v[4:5]
	v_add_nc_u32_e32 v4, v5, v2
	s_delay_alu instid0(VALU_DEP_1) | instskip(NEXT) | instid1(VALU_DEP_1)
	v_lshrrev_b32_e32 v4, s14, v4
	v_mul_lo_u32 v5, v4, s12
	s_delay_alu instid0(VALU_DEP_1) | instskip(NEXT) | instid1(VALU_DEP_1)
	v_sub_nc_u32_e32 v5, v2, v5
	v_mul_lo_u32 v6, v5, s15
	s_cbranch_scc1 .LBB5_18
; %bb.17:
	s_clause 0x1
	s_load_b96 s[12:14], s[4:5], 0x10
	s_load_b32 s10, s[4:5], 0xc8
	s_wait_kmcnt 0x0
	v_mul_hi_u32 v5, s13, v4
	s_delay_alu instid0(VALU_DEP_1) | instskip(NEXT) | instid1(VALU_DEP_1)
	v_add_nc_u32_e32 v5, v4, v5
	v_lshrrev_b32_e32 v5, s14, v5
	s_delay_alu instid0(VALU_DEP_1) | instskip(NEXT) | instid1(VALU_DEP_1)
	v_mul_lo_u32 v5, v5, s12
	v_sub_nc_u32_e32 v4, v4, v5
	s_delay_alu instid0(VALU_DEP_1)
	v_mad_u32 v6, v4, s10, v6
.LBB5_18:
	s_delay_alu instid0(VALU_DEP_1)
	v_add_nc_u32_e32 v7, 1, v6
	s_mov_b64 s[4:5], 0xcd9e8d57
	s_load_b64 s[0:1], s[0:1], 0x0
	s_clause 0x1
	global_load_b64 v[8:9], v7, s[2:3] scale_offset
	global_load_b64 v[4:5], v6, s[2:3] scale_offset
	s_wait_xcnt 0x0
	v_mul_u64_e32 v[6:7], s[8:9], v[2:3]
	s_mov_b64 s[2:3], 0xd2511f53
	s_lshr_b32 s8, s16, 16
	s_delay_alu instid0(VALU_DEP_1) | instskip(SKIP_1) | instid1(VALU_DEP_1)
	v_sub_nc_u64_e32 v[6:7], v[0:1], v[6:7]
	s_wait_loadcnt 0x1
	v_add_nc_u64_e32 v[0:1], v[8:9], v[6:7]
	s_wait_loadcnt 0x0
	v_dual_mov_b32 v9, 0 :: v_dual_add_nc_u32 v16, 0xf1bbcdc8, v4
	v_add_nc_u32_e32 v17, 0xdb3d7428, v5
	s_delay_alu instid0(VALU_DEP_2) | instskip(NEXT) | instid1(VALU_DEP_4)
	v_dual_mov_b32 v13, v9 :: v_dual_mov_b32 v8, v0
	v_xor_b32_e32 v12, v1, v4
	v_mul_lo_u32 v0, 0xd2511f53, v0
	v_add_nc_u32_e32 v1, 0xbb67ae85, v5
	s_delay_alu instid0(VALU_DEP_4) | instskip(NEXT) | instid1(VALU_DEP_1)
	v_mul_u64_e32 v[10:11], s[2:3], v[8:9]
	v_xor_b32_e32 v8, v11, v5
	v_mul_u64_e32 v[10:11], s[2:3], v[12:13]
	v_mul_lo_u32 v10, 0xd2511f53, v12
	v_add_nc_u32_e32 v12, 0x3c6ef372, v4
	v_add_nc_u32_e32 v13, 0x76cf5d0a, v5
	v_mul_u64_e32 v[14:15], s[4:5], v[8:9]
	v_add_nc_u32_e32 v9, 0x9e3779b9, v4
	v_mul_lo_u32 v8, 0xcd9e8d57, v8
	v_add_nc_u32_e32 v14, 0x1fd5c5a3, v5
	s_and_b64 s[2:3], s[6:7], 3
	s_delay_alu instid0(SALU_CYCLE_1) | instskip(SKIP_3) | instid1(SALU_CYCLE_1)
	s_cmp_lg_u64 s[2:3], 0
	s_mov_b32 s3, 0
	s_cselect_b32 s9, -1, 0
	s_ashr_i32 s2, s7, 31
	s_lshr_b32 s2, s2, 30
	s_delay_alu instid0(SALU_CYCLE_1) | instskip(SKIP_2) | instid1(SALU_CYCLE_1)
	s_add_nc_u64 s[4:5], s[6:7], s[2:3]
	s_sub_f16 s2, s8, s16
	s_ashr_i64 s[4:5], s[4:5], 2
	v_cmp_le_i64_e32 vcc_lo, s[4:5], v[6:7]
	s_delay_alu instid0(SALU_CYCLE_1) | instskip(SKIP_4) | instid1(VALU_DEP_2)
	s_cvt_f32_f16 s2, s2
	s_cvt_f32_f16 s4, s16
	s_or_b32 s5, s9, vcc_lo
	v_xor3_b32 v0, v0, v1, v11
	v_xor_b32_e32 v1, v9, v15
	v_mul_hi_u32 v9, 0xcd9e8d57, v0
	v_mul_lo_u32 v0, 0xcd9e8d57, v0
	v_add_nc_u32_e32 v15, 0x5384540f, v4
	s_delay_alu instid0(VALU_DEP_4) | instskip(SKIP_3) | instid1(VALU_DEP_4)
	v_mul_hi_u32 v11, 0xd2511f53, v1
	v_mul_lo_u32 v1, 0xd2511f53, v1
	v_xor3_b32 v8, v8, v12, v9
	v_add_nc_u32_e32 v12, 0x32370b8f, v5
	v_xor3_b32 v9, v10, v13, v11
	s_delay_alu instid0(VALU_DEP_3) | instskip(SKIP_2) | instid1(VALU_DEP_4)
	v_mul_hi_u32 v10, 0xd2511f53, v8
	v_add_nc_u32_e32 v13, 0xdaa66d2b, v4
	v_mul_lo_u32 v8, 0xd2511f53, v8
	v_mul_hi_u32 v11, 0xcd9e8d57, v9
	v_mul_lo_u32 v9, 0xcd9e8d57, v9
	v_xor3_b32 v1, v1, v12, v10
	v_add_nc_u32_e32 v12, 0x78dde6e4, v4
	s_delay_alu instid0(VALU_DEP_4) | instskip(NEXT) | instid1(VALU_DEP_3)
	v_xor3_b32 v0, v0, v13, v11
	v_mul_hi_u32 v10, 0xcd9e8d57, v1
	v_add_nc_u32_e32 v13, 0xed9eba14, v5
	v_mul_lo_u32 v1, 0xcd9e8d57, v1
	s_delay_alu instid0(VALU_DEP_4) | instskip(SKIP_3) | instid1(VALU_DEP_4)
	v_mul_hi_u32 v11, 0xd2511f53, v0
	v_mul_lo_u32 v0, 0xd2511f53, v0
	v_xor3_b32 v9, v9, v12, v10
	v_add_nc_u32_e32 v12, 0xa9066899, v5
	v_xor3_b32 v8, v8, v13, v11
	s_delay_alu instid0(VALU_DEP_3) | instskip(SKIP_2) | instid1(VALU_DEP_4)
	v_mul_hi_u32 v10, 0xd2511f53, v9
	v_add_nc_u32_e32 v13, 0x1715609d, v4
	v_mul_lo_u32 v9, 0xd2511f53, v9
	v_mul_hi_u32 v11, 0xcd9e8d57, v8
	v_mul_lo_u32 v8, 0xcd9e8d57, v8
	v_xor3_b32 v0, v0, v12, v10
	v_add_nc_u32_e32 v12, 0xb54cda56, v4
	s_delay_alu instid0(VALU_DEP_4) | instskip(NEXT) | instid1(VALU_DEP_3)
	v_xor3_b32 v1, v1, v13, v11
	v_mul_hi_u32 v10, 0xcd9e8d57, v0
	v_add_nc_u32_e32 v13, 0x646e171e, v5
	v_mul_lo_u32 v0, 0xcd9e8d57, v0
	s_delay_alu instid0(VALU_DEP_4) | instskip(SKIP_2) | instid1(VALU_DEP_3)
	v_mul_hi_u32 v11, 0xd2511f53, v1
	v_mul_lo_u32 v1, 0xd2511f53, v1
	v_xor3_b32 v10, v8, v12, v10
	v_xor3_b32 v11, v9, v13, v11
	s_delay_alu instid0(VALU_DEP_2) | instskip(SKIP_1) | instid1(VALU_DEP_3)
	v_mul_hi_u32 v12, 0xd2511f53, v10
	v_lshlrev_b64_e32 v[8:9], 2, v[6:7]
	v_mul_hi_u32 v13, 0xcd9e8d57, v11
	s_delay_alu instid0(VALU_DEP_3) | instskip(SKIP_2) | instid1(VALU_DEP_4)
	v_xor3_b32 v12, v1, v14, v12
	v_mul_lo_u32 v14, 0xd2511f53, v10
	v_mul_lo_u32 v10, 0xcd9e8d57, v11
	v_xor3_b32 v13, v0, v15, v13
	v_mad_nc_u64_u32 v[0:1], v2, s6, v[8:9]
	v_mul_hi_u32 v11, 0xcd9e8d57, v12
	s_delay_alu instid0(VALU_DEP_3) | instskip(NEXT) | instid1(VALU_DEP_3)
	v_mul_hi_u32 v15, 0xd2511f53, v13
	v_mad_u32 v1, v3, s6, v1
	s_delay_alu instid0(VALU_DEP_3) | instskip(SKIP_3) | instid1(VALU_DEP_4)
	v_xor3_b32 v10, v10, v16, v11
	v_mul_lo_u32 v11, 0xcd9e8d57, v12
	v_mul_lo_u32 v12, 0xd2511f53, v13
	v_xor3_b32 v3, v14, v17, v15
	v_mul_hi_u32 v13, 0xd2511f53, v10
	s_delay_alu instid0(VALU_DEP_2) | instskip(SKIP_4) | instid1(VALU_DEP_2)
	v_mul_hi_u32 v14, 0xcd9e8d57, v3
	v_mad_u32 v1, v2, s7, v1
	v_add_nc_u32_e32 v2, 0x8ff34781, v4
	v_add_nc_u32_e32 v4, 0x96a522ad, v5
	v_mul_lo_u32 v5, 0xcd9e8d57, v3
	v_xor3_b32 v4, v12, v4, v13
	s_delay_alu instid0(VALU_DEP_4) | instskip(SKIP_1) | instid1(SALU_CYCLE_1)
	v_xor3_b32 v2, v11, v2, v14
	s_and_saveexec_b32 s8, s5
	s_xor_b32 s5, exec_lo, s8
	s_cbranch_execnz .LBB5_23
; %bb.19:
	s_and_not1_saveexec_b32 s5, s5
	s_cbranch_execnz .LBB5_30
.LBB5_20:
	s_or_b32 exec_lo, exec_lo, s5
	s_delay_alu instid0(SALU_CYCLE_1)
	s_and_b32 exec_lo, exec_lo, s3
	s_cbranch_execz .LBB5_22
.LBB5_21:
	v_mul_lo_u32 v2, 0x753, v10
	s_wait_kmcnt 0x0
	v_lshl_add_u64 v[0:1], v[0:1], 1, s[0:1]
	s_delay_alu instid0(VALU_DEP_2) | instskip(NEXT) | instid1(VALU_DEP_1)
	v_and_b32_e32 v2, 0x7ff, v2
	v_cvt_f32_u32_e32 v2, v2
	s_delay_alu instid0(VALU_DEP_1) | instskip(NEXT) | instid1(VALU_DEP_1)
	v_mul_f32_e32 v2, 0x3a000000, v2
	v_fma_mixlo_f16 v2, v2, s2, s4
	global_store_b16 v[0:1], v2, off offset:6
.LBB5_22:
	s_endpgm
.LBB5_23:
	s_mov_b32 s8, 0
	s_mov_b32 s3, exec_lo
	v_cmpx_gt_i64_e64 s[6:7], v[8:9]
	s_cbranch_execz .LBB5_29
; %bb.24:
	v_and_b32_e32 v2, 0x7ff, v2
	v_dual_mov_b32 v7, v9 :: v_dual_bitop2_b32 v6, 1, v8 bitop3:0x54
	s_mov_b32 s9, 0
	s_delay_alu instid0(VALU_DEP_2) | instskip(NEXT) | instid1(VALU_DEP_2)
	v_cvt_f32_u32_e32 v2, v2
	v_cmp_gt_u64_e32 vcc_lo, s[6:7], v[6:7]
	s_delay_alu instid0(VALU_DEP_2) | instskip(SKIP_2) | instid1(VALU_DEP_2)
	v_mul_f32_e32 v11, 0x3a000000, v2
	s_wait_kmcnt 0x0
	v_lshl_add_u64 v[2:3], v[0:1], 1, s[0:1]
	v_fma_mixlo_f16 v6, v11, s2, s4
	global_store_b16 v[2:3], v6, off
	s_wait_xcnt 0x0
	s_and_saveexec_b32 s8, vcc_lo
	s_cbranch_execz .LBB5_28
; %bb.25:
	v_and_b32_e32 v5, 0x7ff, v5
	v_dual_mov_b32 v7, v9 :: v_dual_bitop2_b32 v6, 2, v8 bitop3:0x54
	s_mov_b32 s10, 0
	s_mov_b32 s9, exec_lo
	s_delay_alu instid0(VALU_DEP_2) | instskip(NEXT) | instid1(VALU_DEP_1)
	v_cvt_f32_u32_e32 v5, v5
	v_mul_f32_e32 v5, 0x3a000000, v5
	s_delay_alu instid0(VALU_DEP_1)
	v_fma_mixlo_f16 v5, v5, s2, s4
	global_store_b16 v[2:3], v5, off offset:2
	s_wait_xcnt 0x0
	v_cmpx_gt_u64_e64 s[6:7], v[6:7]
	s_xor_b32 s9, exec_lo, s9
	s_cbranch_execz .LBB5_27
; %bb.26:
	v_and_b32_e32 v4, 0x7ff, v4
	v_or_b32_e32 v8, 3, v8
	s_delay_alu instid0(VALU_DEP_2) | instskip(NEXT) | instid1(VALU_DEP_2)
	v_cvt_f32_u32_e32 v4, v4
	v_cmp_gt_u64_e32 vcc_lo, s[6:7], v[8:9]
	s_delay_alu instid0(VALU_DEP_2) | instskip(SKIP_1) | instid1(VALU_DEP_1)
	v_mul_f32_e32 v4, 0x3a000000, v4
	s_and_b32 s10, vcc_lo, exec_lo
	v_fma_mixlo_f16 v4, v4, s2, s4
	global_store_b16 v[2:3], v4, off offset:4
.LBB5_27:
	s_wait_xcnt 0x0
	s_or_b32 exec_lo, exec_lo, s9
	s_delay_alu instid0(SALU_CYCLE_1)
	s_and_b32 s9, s10, exec_lo
.LBB5_28:
	s_or_b32 exec_lo, exec_lo, s8
	s_delay_alu instid0(SALU_CYCLE_1)
	s_and_b32 s8, s9, exec_lo
.LBB5_29:
	s_or_b32 exec_lo, exec_lo, s3
	s_delay_alu instid0(SALU_CYCLE_1)
	s_and_b32 s3, s8, exec_lo
                                        ; implicit-def: $vgpr5
                                        ; implicit-def: $vgpr2
                                        ; implicit-def: $vgpr4
	s_and_not1_saveexec_b32 s5, s5
	s_cbranch_execz .LBB5_20
.LBB5_30:
	s_delay_alu instid0(VALU_DEP_3) | instskip(SKIP_3) | instid1(VALU_DEP_3)
	v_and_b32_e32 v3, 0x7ff, v5
	v_and_b32_e32 v2, 0x7ff, v2
	;; [unrolled: 1-line block ×3, first 2 shown]
	s_mov_b32 s6, 0x3a000000
	v_cvt_f32_u32_e32 v3, v3
	s_delay_alu instid0(VALU_DEP_3) | instskip(NEXT) | instid1(VALU_DEP_3)
	v_cvt_f32_u32_e32 v2, v2
	v_cvt_f32_u32_e32 v4, v4
	s_delay_alu instid0(VALU_DEP_2) | instskip(NEXT) | instid1(VALU_DEP_2)
	v_pk_mul_f32 v[2:3], v[2:3], s[6:7] op_sel_hi:[1,0]
	v_mul_f32_e32 v4, 0x3a000000, v4
	s_delay_alu instid0(VALU_DEP_2) | instskip(NEXT) | instid1(VALU_DEP_2)
	v_pk_fma_f32 v[2:3], v[2:3], s[2:3], s[4:5] op_sel_hi:[1,0,0]
	v_fma_mixlo_f16 v6, v4, s2, s4
	s_wait_kmcnt 0x0
	v_lshl_add_u64 v[4:5], v[0:1], 1, s[0:1]
	s_or_b32 s3, s3, exec_lo
	v_cvt_pk_f16_f32 v2, v2, v3
	s_clause 0x1
	global_store_b16 v[4:5], v6, off offset:4
	global_store_b32 v[4:5], v2, off
	s_wait_xcnt 0x0
	s_or_b32 exec_lo, exec_lo, s5
	s_delay_alu instid0(SALU_CYCLE_1)
	s_and_b32 exec_lo, exec_lo, s3
	s_cbranch_execnz .LBB5_21
	s_branch .LBB5_22
	.section	.rodata,"a",@progbits
	.p2align	6, 0x0
	.amdhsa_kernel _ZN2at6native12_GLOBAL__N_123philox_multi_key_kernelIN3c104HalfEZZZZNS0_21_philox_uniform_cuda_ERNS_6TensorERKS5_ddENKUlvE_clEvENKUlvE1_clEvENKUlvE_clEvEUlmmE0_ZZZNS0_21_philox_uniform_cuda_ES6_S8_ddENKS9_clEvENKSA_clEvEUlT_E_EEvPSD_PKmllT0_T1_16OffsetCalculatorILi1EjLb0EE
		.amdhsa_group_segment_fixed_size 0
		.amdhsa_private_segment_fixed_size 0
		.amdhsa_kernarg_size 560
		.amdhsa_user_sgpr_count 2
		.amdhsa_user_sgpr_dispatch_ptr 0
		.amdhsa_user_sgpr_queue_ptr 0
		.amdhsa_user_sgpr_kernarg_segment_ptr 1
		.amdhsa_user_sgpr_dispatch_id 0
		.amdhsa_user_sgpr_kernarg_preload_length 0
		.amdhsa_user_sgpr_kernarg_preload_offset 0
		.amdhsa_user_sgpr_private_segment_size 0
		.amdhsa_wavefront_size32 1
		.amdhsa_uses_dynamic_stack 0
		.amdhsa_enable_private_segment 0
		.amdhsa_system_sgpr_workgroup_id_x 1
		.amdhsa_system_sgpr_workgroup_id_y 0
		.amdhsa_system_sgpr_workgroup_id_z 0
		.amdhsa_system_sgpr_workgroup_info 0
		.amdhsa_system_vgpr_workitem_id 0
		.amdhsa_next_free_vgpr 18
		.amdhsa_next_free_sgpr 40
		.amdhsa_named_barrier_count 0
		.amdhsa_reserve_vcc 1
		.amdhsa_float_round_mode_32 0
		.amdhsa_float_round_mode_16_64 0
		.amdhsa_float_denorm_mode_32 3
		.amdhsa_float_denorm_mode_16_64 3
		.amdhsa_fp16_overflow 0
		.amdhsa_memory_ordered 1
		.amdhsa_forward_progress 1
		.amdhsa_inst_pref_size 25
		.amdhsa_round_robin_scheduling 0
		.amdhsa_exception_fp_ieee_invalid_op 0
		.amdhsa_exception_fp_denorm_src 0
		.amdhsa_exception_fp_ieee_div_zero 0
		.amdhsa_exception_fp_ieee_overflow 0
		.amdhsa_exception_fp_ieee_underflow 0
		.amdhsa_exception_fp_ieee_inexact 0
		.amdhsa_exception_int_div_zero 0
	.end_amdhsa_kernel
	.section	.text._ZN2at6native12_GLOBAL__N_123philox_multi_key_kernelIN3c104HalfEZZZZNS0_21_philox_uniform_cuda_ERNS_6TensorERKS5_ddENKUlvE_clEvENKUlvE1_clEvENKUlvE_clEvEUlmmE0_ZZZNS0_21_philox_uniform_cuda_ES6_S8_ddENKS9_clEvENKSA_clEvEUlT_E_EEvPSD_PKmllT0_T1_16OffsetCalculatorILi1EjLb0EE,"axG",@progbits,_ZN2at6native12_GLOBAL__N_123philox_multi_key_kernelIN3c104HalfEZZZZNS0_21_philox_uniform_cuda_ERNS_6TensorERKS5_ddENKUlvE_clEvENKUlvE1_clEvENKUlvE_clEvEUlmmE0_ZZZNS0_21_philox_uniform_cuda_ES6_S8_ddENKS9_clEvENKSA_clEvEUlT_E_EEvPSD_PKmllT0_T1_16OffsetCalculatorILi1EjLb0EE,comdat
.Lfunc_end5:
	.size	_ZN2at6native12_GLOBAL__N_123philox_multi_key_kernelIN3c104HalfEZZZZNS0_21_philox_uniform_cuda_ERNS_6TensorERKS5_ddENKUlvE_clEvENKUlvE1_clEvENKUlvE_clEvEUlmmE0_ZZZNS0_21_philox_uniform_cuda_ES6_S8_ddENKS9_clEvENKSA_clEvEUlT_E_EEvPSD_PKmllT0_T1_16OffsetCalculatorILi1EjLb0EE, .Lfunc_end5-_ZN2at6native12_GLOBAL__N_123philox_multi_key_kernelIN3c104HalfEZZZZNS0_21_philox_uniform_cuda_ERNS_6TensorERKS5_ddENKUlvE_clEvENKUlvE1_clEvENKUlvE_clEvEUlmmE0_ZZZNS0_21_philox_uniform_cuda_ES6_S8_ddENKS9_clEvENKSA_clEvEUlT_E_EEvPSD_PKmllT0_T1_16OffsetCalculatorILi1EjLb0EE
                                        ; -- End function
	.set _ZN2at6native12_GLOBAL__N_123philox_multi_key_kernelIN3c104HalfEZZZZNS0_21_philox_uniform_cuda_ERNS_6TensorERKS5_ddENKUlvE_clEvENKUlvE1_clEvENKUlvE_clEvEUlmmE0_ZZZNS0_21_philox_uniform_cuda_ES6_S8_ddENKS9_clEvENKSA_clEvEUlT_E_EEvPSD_PKmllT0_T1_16OffsetCalculatorILi1EjLb0EE.num_vgpr, 18
	.set _ZN2at6native12_GLOBAL__N_123philox_multi_key_kernelIN3c104HalfEZZZZNS0_21_philox_uniform_cuda_ERNS_6TensorERKS5_ddENKUlvE_clEvENKUlvE1_clEvENKUlvE_clEvEUlmmE0_ZZZNS0_21_philox_uniform_cuda_ES6_S8_ddENKS9_clEvENKSA_clEvEUlT_E_EEvPSD_PKmllT0_T1_16OffsetCalculatorILi1EjLb0EE.num_agpr, 0
	.set _ZN2at6native12_GLOBAL__N_123philox_multi_key_kernelIN3c104HalfEZZZZNS0_21_philox_uniform_cuda_ERNS_6TensorERKS5_ddENKUlvE_clEvENKUlvE1_clEvENKUlvE_clEvEUlmmE0_ZZZNS0_21_philox_uniform_cuda_ES6_S8_ddENKS9_clEvENKSA_clEvEUlT_E_EEvPSD_PKmllT0_T1_16OffsetCalculatorILi1EjLb0EE.numbered_sgpr, 40
	.set _ZN2at6native12_GLOBAL__N_123philox_multi_key_kernelIN3c104HalfEZZZZNS0_21_philox_uniform_cuda_ERNS_6TensorERKS5_ddENKUlvE_clEvENKUlvE1_clEvENKUlvE_clEvEUlmmE0_ZZZNS0_21_philox_uniform_cuda_ES6_S8_ddENKS9_clEvENKSA_clEvEUlT_E_EEvPSD_PKmllT0_T1_16OffsetCalculatorILi1EjLb0EE.num_named_barrier, 0
	.set _ZN2at6native12_GLOBAL__N_123philox_multi_key_kernelIN3c104HalfEZZZZNS0_21_philox_uniform_cuda_ERNS_6TensorERKS5_ddENKUlvE_clEvENKUlvE1_clEvENKUlvE_clEvEUlmmE0_ZZZNS0_21_philox_uniform_cuda_ES6_S8_ddENKS9_clEvENKSA_clEvEUlT_E_EEvPSD_PKmllT0_T1_16OffsetCalculatorILi1EjLb0EE.private_seg_size, 0
	.set _ZN2at6native12_GLOBAL__N_123philox_multi_key_kernelIN3c104HalfEZZZZNS0_21_philox_uniform_cuda_ERNS_6TensorERKS5_ddENKUlvE_clEvENKUlvE1_clEvENKUlvE_clEvEUlmmE0_ZZZNS0_21_philox_uniform_cuda_ES6_S8_ddENKS9_clEvENKSA_clEvEUlT_E_EEvPSD_PKmllT0_T1_16OffsetCalculatorILi1EjLb0EE.uses_vcc, 1
	.set _ZN2at6native12_GLOBAL__N_123philox_multi_key_kernelIN3c104HalfEZZZZNS0_21_philox_uniform_cuda_ERNS_6TensorERKS5_ddENKUlvE_clEvENKUlvE1_clEvENKUlvE_clEvEUlmmE0_ZZZNS0_21_philox_uniform_cuda_ES6_S8_ddENKS9_clEvENKSA_clEvEUlT_E_EEvPSD_PKmllT0_T1_16OffsetCalculatorILi1EjLb0EE.uses_flat_scratch, 0
	.set _ZN2at6native12_GLOBAL__N_123philox_multi_key_kernelIN3c104HalfEZZZZNS0_21_philox_uniform_cuda_ERNS_6TensorERKS5_ddENKUlvE_clEvENKUlvE1_clEvENKUlvE_clEvEUlmmE0_ZZZNS0_21_philox_uniform_cuda_ES6_S8_ddENKS9_clEvENKSA_clEvEUlT_E_EEvPSD_PKmllT0_T1_16OffsetCalculatorILi1EjLb0EE.has_dyn_sized_stack, 0
	.set _ZN2at6native12_GLOBAL__N_123philox_multi_key_kernelIN3c104HalfEZZZZNS0_21_philox_uniform_cuda_ERNS_6TensorERKS5_ddENKUlvE_clEvENKUlvE1_clEvENKUlvE_clEvEUlmmE0_ZZZNS0_21_philox_uniform_cuda_ES6_S8_ddENKS9_clEvENKSA_clEvEUlT_E_EEvPSD_PKmllT0_T1_16OffsetCalculatorILi1EjLb0EE.has_recursion, 0
	.set _ZN2at6native12_GLOBAL__N_123philox_multi_key_kernelIN3c104HalfEZZZZNS0_21_philox_uniform_cuda_ERNS_6TensorERKS5_ddENKUlvE_clEvENKUlvE1_clEvENKUlvE_clEvEUlmmE0_ZZZNS0_21_philox_uniform_cuda_ES6_S8_ddENKS9_clEvENKSA_clEvEUlT_E_EEvPSD_PKmllT0_T1_16OffsetCalculatorILi1EjLb0EE.has_indirect_call, 0
	.section	.AMDGPU.csdata,"",@progbits
; Kernel info:
; codeLenInByte = 3168
; TotalNumSgprs: 42
; NumVgprs: 18
; ScratchSize: 0
; MemoryBound: 0
; FloatMode: 240
; IeeeMode: 1
; LDSByteSize: 0 bytes/workgroup (compile time only)
; SGPRBlocks: 0
; VGPRBlocks: 1
; NumSGPRsForWavesPerEU: 42
; NumVGPRsForWavesPerEU: 18
; NamedBarCnt: 0
; Occupancy: 16
; WaveLimiterHint : 1
; COMPUTE_PGM_RSRC2:SCRATCH_EN: 0
; COMPUTE_PGM_RSRC2:USER_SGPR: 2
; COMPUTE_PGM_RSRC2:TRAP_HANDLER: 0
; COMPUTE_PGM_RSRC2:TGID_X_EN: 1
; COMPUTE_PGM_RSRC2:TGID_Y_EN: 0
; COMPUTE_PGM_RSRC2:TGID_Z_EN: 0
; COMPUTE_PGM_RSRC2:TIDIG_COMP_CNT: 0
	.section	.text._ZN2at6native12_GLOBAL__N_124philox_single_key_kernelIN3c108BFloat16EZZZZNS0_21_philox_uniform_cuda_ERNS_6TensorERKS5_ddENKUlvE_clEvENKUlvE2_clEvENKUlvE_clEvEUlmmE0_ZZZNS0_21_philox_uniform_cuda_ES6_S8_ddENKS9_clEvENKSA_clEvEUlT_E_EEvPSD_PKmlT0_T1_,"axG",@progbits,_ZN2at6native12_GLOBAL__N_124philox_single_key_kernelIN3c108BFloat16EZZZZNS0_21_philox_uniform_cuda_ERNS_6TensorERKS5_ddENKUlvE_clEvENKUlvE2_clEvENKUlvE_clEvEUlmmE0_ZZZNS0_21_philox_uniform_cuda_ES6_S8_ddENKS9_clEvENKSA_clEvEUlT_E_EEvPSD_PKmlT0_T1_,comdat
	.globl	_ZN2at6native12_GLOBAL__N_124philox_single_key_kernelIN3c108BFloat16EZZZZNS0_21_philox_uniform_cuda_ERNS_6TensorERKS5_ddENKUlvE_clEvENKUlvE2_clEvENKUlvE_clEvEUlmmE0_ZZZNS0_21_philox_uniform_cuda_ES6_S8_ddENKS9_clEvENKSA_clEvEUlT_E_EEvPSD_PKmlT0_T1_ ; -- Begin function _ZN2at6native12_GLOBAL__N_124philox_single_key_kernelIN3c108BFloat16EZZZZNS0_21_philox_uniform_cuda_ERNS_6TensorERKS5_ddENKUlvE_clEvENKUlvE2_clEvENKUlvE_clEvEUlmmE0_ZZZNS0_21_philox_uniform_cuda_ES6_S8_ddENKS9_clEvENKSA_clEvEUlT_E_EEvPSD_PKmlT0_T1_
	.p2align	8
	.type	_ZN2at6native12_GLOBAL__N_124philox_single_key_kernelIN3c108BFloat16EZZZZNS0_21_philox_uniform_cuda_ERNS_6TensorERKS5_ddENKUlvE_clEvENKUlvE2_clEvENKUlvE_clEvEUlmmE0_ZZZNS0_21_philox_uniform_cuda_ES6_S8_ddENKS9_clEvENKSA_clEvEUlT_E_EEvPSD_PKmlT0_T1_,@function
_ZN2at6native12_GLOBAL__N_124philox_single_key_kernelIN3c108BFloat16EZZZZNS0_21_philox_uniform_cuda_ERNS_6TensorERKS5_ddENKUlvE_clEvENKUlvE2_clEvENKUlvE_clEvEUlmmE0_ZZZNS0_21_philox_uniform_cuda_ES6_S8_ddENKS9_clEvENKSA_clEvEUlT_E_EEvPSD_PKmlT0_T1_: ; @_ZN2at6native12_GLOBAL__N_124philox_single_key_kernelIN3c108BFloat16EZZZZNS0_21_philox_uniform_cuda_ERNS_6TensorERKS5_ddENKUlvE_clEvENKUlvE2_clEvENKUlvE_clEvEUlmmE0_ZZZNS0_21_philox_uniform_cuda_ES6_S8_ddENKS9_clEvENKSA_clEvEUlT_E_EEvPSD_PKmlT0_T1_
; %bb.0:
	v_mov_b32_e32 v3, 0
	s_clause 0x2
	s_load_b64 s[12:13], s[2:3], 0x10
	s_load_b32 s8, s[2:3], 0x2c
	s_load_b128 s[4:7], s[2:3], 0x0
	s_bfe_u32 s9, ttmp6, 0x4000c
	s_getreg_b32 s10, hwreg(HW_REG_IB_STS2, 6, 4)
	s_add_co_i32 s9, s9, 1
	global_load_b32 v1, v3, s[2:3] offset:26
	s_wait_xcnt 0x0
	s_mov_b32 s3, 0
	s_mul_i32 s9, ttmp9, s9
	v_and_b32_e32 v2, 0x3ff, v0
	s_wait_kmcnt 0x0
	s_ashr_i32 s2, s13, 31
	s_and_b32 s14, s8, 0xffff
	s_lshr_b32 s2, s2, 30
	s_and_b32 s8, ttmp6, 15
	s_add_nc_u64 s[2:3], s[12:13], s[2:3]
	s_add_co_i32 s15, s8, s9
	s_ashr_i64 s[2:3], s[2:3], 2
	s_cmp_eq_u32 s10, 0
	s_load_b128 s[8:11], s[6:7], 0x0
	s_wait_xcnt 0x0
	s_cselect_b32 s6, ttmp9, s15
	s_delay_alu instid0(SALU_CYCLE_1) | instskip(SKIP_3) | instid1(VALU_DEP_2)
	v_mad_nc_u64_u32 v[4:5], s14, s6, v[2:3]
	s_mov_b32 s6, exec_lo
	s_wait_loadcnt 0x0
	v_readfirstlane_b32 s14, v1
	v_cmpx_gt_i64_e64 s[2:3], v[4:5]
	s_cbranch_execz .LBB6_2
; %bb.1:
	s_wait_kmcnt 0x0
	v_add_nc_u64_e32 v[6:7], s[10:11], v[4:5]
	v_mov_b32_e32 v9, v3
	s_mov_b64 s[16:17], 0xd2511f53
	v_mov_b32_e32 v11, v3
	s_add_co_i32 s7, s9, 0xbb67ae85
	s_add_co_i32 s15, s9, 0xdb3d7428
	s_delay_alu instid0(VALU_DEP_3) | instskip(SKIP_1) | instid1(VALU_DEP_2)
	v_dual_mov_b32 v8, v6 :: v_dual_bitop2_b32 v10, s8, v7 bitop3:0x14
	v_mul_lo_u32 v1, 0xd2511f53, v6
	v_mul_u64_e32 v[8:9], s[16:17], v[8:9]
	s_delay_alu instid0(VALU_DEP_3) | instskip(SKIP_2) | instid1(VALU_DEP_3)
	v_mul_u64_e32 v[12:13], s[16:17], v[10:11]
	v_mov_b32_e32 v15, v3
	s_mov_b64 s[16:17], 0xcd9e8d57
	v_xor_b32_e32 v14, s9, v9
	s_delay_alu instid0(VALU_DEP_3) | instskip(SKIP_1) | instid1(VALU_DEP_2)
	v_xor3_b32 v1, v1, s7, v13
	s_add_co_i32 s7, s8, 0x9e3779b9
	v_mul_u64_e32 v[8:9], s[16:17], v[14:15]
	v_mul_lo_u32 v3, 0xcd9e8d57, v14
	s_delay_alu instid0(VALU_DEP_3) | instskip(SKIP_3) | instid1(VALU_DEP_4)
	v_mul_hi_u32 v6, 0xcd9e8d57, v1
	v_mul_lo_u32 v1, 0xcd9e8d57, v1
	s_lshl_b32 s16, s14, 16
	s_add_co_i32 s17, s8, 0x81
	v_xor_b32_e32 v7, s7, v9
	s_add_co_i32 s7, s8, 0x3c6ef372
	s_delay_alu instid0(VALU_DEP_3) | instid1(SALU_CYCLE_1)
	v_xor3_b32 v3, v3, s7, v6
	v_mul_lo_u32 v6, 0xd2511f53, v10
	s_delay_alu instid0(VALU_DEP_3) | instskip(SKIP_4) | instid1(VALU_DEP_4)
	v_mul_hi_u32 v8, 0xd2511f53, v7
	v_mul_lo_u32 v7, 0xd2511f53, v7
	s_add_co_i32 s7, s9, 0x76cf5d0a
	v_mul_hi_u32 v9, 0xd2511f53, v3
	v_mul_lo_u32 v3, 0xd2511f53, v3
	v_xor3_b32 v6, v6, s7, v8
	s_add_co_i32 s7, s9, 0x32370b8f
	s_delay_alu instid0(VALU_DEP_3) | instid1(SALU_CYCLE_1)
	v_xor3_b32 v7, v7, s7, v9
	s_add_co_i32 s7, s8, 0xdaa66d2b
	s_delay_alu instid0(VALU_DEP_2) | instskip(SKIP_1) | instid1(VALU_DEP_3)
	v_mul_hi_u32 v8, 0xcd9e8d57, v6
	v_mul_lo_u32 v6, 0xcd9e8d57, v6
	v_mul_hi_u32 v9, 0xcd9e8d57, v7
	v_mul_lo_u32 v7, 0xcd9e8d57, v7
	s_delay_alu instid0(VALU_DEP_4)
	v_xor3_b32 v1, v1, s7, v8
	s_add_co_i32 s7, s8, 0x78dde6e4
	s_delay_alu instid0(VALU_DEP_3) | instid1(SALU_CYCLE_1)
	v_xor3_b32 v6, v6, s7, v9
	s_add_co_i32 s7, s9, 0xed9eba14
	s_delay_alu instid0(VALU_DEP_2) | instskip(SKIP_1) | instid1(VALU_DEP_3)
	v_mul_hi_u32 v8, 0xd2511f53, v1
	v_mul_lo_u32 v1, 0xd2511f53, v1
	v_mul_hi_u32 v9, 0xd2511f53, v6
	v_mul_lo_u32 v6, 0xd2511f53, v6
	s_delay_alu instid0(VALU_DEP_4)
	;; [unrolled: 11-line block ×4, first 2 shown]
	v_xor3_b32 v6, v6, s7, v8
	s_add_co_i32 s7, s9, 0x1fd5c5a3
	s_delay_alu instid0(VALU_DEP_3) | instid1(SALU_CYCLE_1)
	v_xor3_b32 v7, v7, s7, v9
	s_add_co_i32 s7, s8, 0x5384540f
	s_delay_alu instid0(VALU_DEP_2) | instskip(SKIP_1) | instid1(VALU_DEP_3)
	v_mul_hi_u32 v8, 0xcd9e8d57, v6
	v_mul_lo_u32 v6, 0xcd9e8d57, v6
	v_mul_hi_u32 v9, 0xcd9e8d57, v7
	s_delay_alu instid0(VALU_DEP_3)
	v_xor3_b32 v1, v1, s7, v8
	s_add_co_i32 s7, s8, 0xf1bbcdc8
	s_delay_alu instid0(VALU_DEP_2) | instid1(SALU_CYCLE_1)
	v_xor3_b32 v6, v6, s7, v9
	s_and_b32 s7, s14, 0xffff0000
	s_delay_alu instid0(VALU_DEP_2) | instskip(SKIP_4) | instid1(SALU_CYCLE_1)
	v_mul_hi_u32 v8, 0xd2511f53, v1
	v_mul_lo_u32 v1, 0x53, v1
	s_sub_f32 s7, s7, s16
	v_mul_hi_u32 v9, 0xd2511f53, v6
	v_mul_lo_u32 v6, 0x53, v6
	s_bfe_u32 s18, s7, 0x10010
	s_delay_alu instid0(VALU_DEP_4) | instskip(SKIP_2) | instid1(VALU_DEP_4)
	v_xor3_b32 v3, v3, s15, v8
	s_add_co_i32 s15, s9, 0xad
	v_mul_lo_u32 v8, 0x57, v7
	v_xor3_b32 v1, v1, s15, v9
	s_add_co_i32 s15, s7, s18
	v_mul_hi_u32 v9, 0xcd9e8d57, v3
	v_mul_lo_u32 v3, 0x57, v3
	v_cvt_f32_ubyte0_e32 v6, v6
	v_cvt_f32_ubyte0_e32 v7, v1
	s_addk_co_i32 s15, 0x7fff
	s_mov_b32 s18, 0x3b800000
	s_and_b32 s15, s15, 0xffff0000
	s_cmp_o_f32 s7, s7
	v_pk_mul_f32 v[6:7], v[6:7], s[18:19] op_sel_hi:[1,0]
	s_cselect_b32 s20, s15, 0x7fc00000
	v_xor3_b32 v1, v8, s17, v9
	s_delay_alu instid0(VALU_DEP_2) | instskip(SKIP_1) | instid1(VALU_DEP_3)
	v_pk_fma_f32 v[6:7], s[20:21], v[6:7], s[16:17] op_sel_hi:[0,1,0]
	v_cvt_f32_ubyte0_e32 v8, v3
	v_cvt_f32_ubyte0_e32 v9, v1
	s_delay_alu instid0(VALU_DEP_3) | instskip(NEXT) | instid1(VALU_DEP_4)
	v_bfe_u32 v1, v6, 16, 1
	v_bfe_u32 v3, v7, 16, 1
	v_cmp_o_f32_e32 vcc_lo, v6, v6
	s_delay_alu instid0(VALU_DEP_4) | instskip(NEXT) | instid1(VALU_DEP_4)
	v_pk_mul_f32 v[8:9], v[8:9], s[18:19] op_sel_hi:[1,0]
	v_add3_u32 v1, v6, v1, 0x7fff
	s_delay_alu instid0(VALU_DEP_4) | instskip(NEXT) | instid1(VALU_DEP_3)
	v_add3_u32 v3, v7, v3, 0x7fff
	v_pk_fma_f32 v[8:9], s[20:21], v[8:9], s[16:17] op_sel_hi:[0,1,0]
	s_delay_alu instid0(VALU_DEP_3) | instskip(NEXT) | instid1(VALU_DEP_3)
	v_and_b32_e32 v1, 0xffff0000, v1
	v_lshrrev_b32_e32 v3, 16, v3
	s_delay_alu instid0(VALU_DEP_3) | instskip(NEXT) | instid1(VALU_DEP_4)
	v_bfe_u32 v10, v8, 16, 1
	v_bfe_u32 v11, v9, 16, 1
	s_delay_alu instid0(VALU_DEP_4) | instskip(SKIP_1) | instid1(VALU_DEP_4)
	v_cndmask_b32_e32 v1, 0x7fc00000, v1, vcc_lo
	v_cmp_o_f32_e32 vcc_lo, v7, v7
	v_add3_u32 v6, v8, v10, 0x7fff
	s_delay_alu instid0(VALU_DEP_4) | instskip(SKIP_2) | instid1(VALU_DEP_4)
	v_add3_u32 v10, v9, v11, 0x7fff
	v_cndmask_b32_e32 v3, 0x7fc0, v3, vcc_lo
	v_cmp_o_f32_e32 vcc_lo, v8, v8
	v_and_b32_e32 v6, 0xffff0000, v6
	s_delay_alu instid0(VALU_DEP_3) | instskip(NEXT) | instid1(VALU_DEP_2)
	v_dual_lshrrev_b32 v7, 16, v10 :: v_dual_bitop2_b32 v1, v1, v3 bitop3:0x54
	v_cndmask_b32_e32 v3, 0x7fc00000, v6, vcc_lo
	v_cmp_o_f32_e32 vcc_lo, v9, v9
	s_delay_alu instid0(VALU_DEP_3) | instskip(NEXT) | instid1(VALU_DEP_4)
	v_or3_b32 v9, v1, 0, 0
	v_cndmask_b32_e32 v8, 0x7fc0, v7, vcc_lo
	v_lshl_add_u64 v[6:7], v[4:5], 3, s[4:5]
	s_delay_alu instid0(VALU_DEP_2)
	v_or3_b32 v8, 0, v3, v8
	global_store_b64 v[6:7], v[8:9], off
.LBB6_2:
	s_wait_xcnt 0x0
	s_or_b32 exec_lo, exec_lo, s6
	s_delay_alu instid0(SALU_CYCLE_1)
	s_mov_b32 s6, exec_lo
	v_cmpx_eq_u64_e64 s[2:3], v[4:5]
	s_cbranch_execz .LBB6_11
; %bb.3:
	s_load_b64 s[6:7], s[0:1], 0x4
	s_wait_kmcnt 0x0
	s_add_nc_u64 s[10:11], s[10:11], s[2:3]
	s_mov_b64 s[16:17], 0xffffffff
	s_mov_b64 s[18:19], 0xd2511f53
	s_and_b64 s[16:17], s[10:11], s[16:17]
	s_mov_b32 s21, 0
	s_mul_u64 s[16:17], s[16:17], s[18:19]
	v_bfe_u32 v1, v0, 10, 10
	s_add_co_i32 s20, s9, 0xbb67ae85
	s_mul_i32 s27, s10, 0xd2511f53
	s_xor_b32 s10, s11, s8
	s_mov_b32 s11, s21
	s_xor_b64 s[16:17], s[16:17], s[8:9]
	s_mov_b64 s[22:23], 0xcd9e8d57
	s_mul_i32 s28, s10, 0xd2511f53
	s_mul_u64 s[10:11], s[10:11], s[18:19]
	s_add_co_i32 s24, s8, 0x9e3779b9
	s_add_co_i32 s25, s8, 0x3c6ef372
	;; [unrolled: 1-line block ×3, first 2 shown]
	v_bfe_u32 v0, v0, 20, 10
	s_lshr_b32 s6, s6, 16
	v_mul_u32_u24_e32 v1, s7, v1
	s_mul_i32 s6, s6, s7
	s_add_co_i32 s15, s8, 0x8ff34781
	v_mul_lo_u32 v2, s6, v2
	s_xor_b32 s6, s27, s20
	s_mov_b32 s20, s17
	s_xor_b32 s10, s6, s11
	s_mul_u64 s[6:7], s[20:21], s[22:23]
	s_mul_i32 s11, s17, 0xcd9e8d57
	s_xor_b32 s6, s24, s7
	s_mul_i32 s16, s10, 0xcd9e8d57
	s_mul_hi_u32 s7, s10, 0xcd9e8d57
	s_mul_i32 s10, s6, 0xd2511f53
	s_mul_hi_u32 s6, s6, 0xd2511f53
	s_xor_b32 s11, s11, s25
	s_xor_b32 s17, s28, s26
	s_xor_b32 s7, s11, s7
	s_xor_b32 s6, s17, s6
	s_add_co_i32 s11, s8, 0xdaa66d2b
	s_add_co_i32 s17, s9, 0x32370b8f
	s_mul_i32 s18, s7, 0xd2511f53
	s_mul_hi_u32 s7, s7, 0xd2511f53
	s_mul_i32 s19, s6, 0xcd9e8d57
	s_mul_hi_u32 s6, s6, 0xcd9e8d57
	s_xor_b32 s11, s16, s11
	s_xor_b32 s10, s10, s17
	s_xor_b32 s6, s11, s6
	s_xor_b32 s7, s10, s7
	s_add_co_i32 s10, s8, 0x78dde6e4
	s_add_co_i32 s11, s9, 0xed9eba14
	s_mul_i32 s16, s6, 0xd2511f53
	s_mul_hi_u32 s6, s6, 0xd2511f53
	s_mul_i32 s17, s7, 0xcd9e8d57
	s_mul_hi_u32 s7, s7, 0xcd9e8d57
	s_xor_b32 s10, s19, s10
	s_xor_b32 s11, s18, s11
	s_xor_b32 s7, s10, s7
	s_xor_b32 s6, s11, s6
	s_add_co_i32 s10, s8, 0x1715609d
	s_add_co_i32 s11, s9, 0xa9066899
	s_mul_i32 s18, s7, 0xd2511f53
	s_mul_hi_u32 s7, s7, 0xd2511f53
	s_mul_i32 s19, s6, 0xcd9e8d57
	s_mul_hi_u32 s6, s6, 0xcd9e8d57
	s_xor_b32 s10, s17, s10
	s_xor_b32 s11, s16, s11
	s_xor_b32 s6, s10, s6
	s_xor_b32 s7, s11, s7
	s_add_co_i32 s10, s8, 0xb54cda56
	s_add_co_i32 s11, s9, 0x646e171e
	s_mul_i32 s16, s6, 0xd2511f53
	s_mul_hi_u32 s6, s6, 0xd2511f53
	s_mul_i32 s17, s7, 0xcd9e8d57
	s_mul_hi_u32 s7, s7, 0xcd9e8d57
	s_xor_b32 s10, s19, s10
	s_xor_b32 s11, s18, s11
	s_xor_b32 s7, s10, s7
	s_xor_b32 s6, s11, s6
	s_add_co_i32 s10, s8, 0x5384540f
	s_add_co_i32 s11, s9, 0x1fd5c5a3
	s_mul_i32 s18, s7, 0xd2511f53
	s_mul_hi_u32 s7, s7, 0xd2511f53
	s_mul_i32 s19, s6, 0xcd9e8d57
	s_mul_hi_u32 s6, s6, 0xcd9e8d57
	s_xor_b32 s10, s17, s10
	s_xor_b32 s11, s16, s11
	s_xor_b32 s6, s10, s6
	s_xor_b32 s7, s11, s7
	s_add_co_i32 s8, s8, 0xf1bbcdc8
	s_add_co_i32 s10, s9, 0xdb3d7428
	s_mul_i32 s11, s6, 0xd2511f53
	s_mul_hi_u32 s6, s6, 0xd2511f53
	s_mul_i32 s16, s7, 0xcd9e8d57
	s_mul_hi_u32 s7, s7, 0xcd9e8d57
	s_xor_b32 s8, s19, s8
	s_xor_b32 s10, s18, s10
	;; [unrolled: 1-line block ×4, first 2 shown]
	s_add_co_i32 s8, s9, 0x96a522ad
	v_add3_u32 v4, v2, v1, v0
	s_lshl_b64 s[0:1], s[2:3], 2
	s_mul_i32 s9, s7, 0xd2511f53
	s_mul_hi_u32 s7, s7, 0xd2511f53
	s_mul_i32 s10, s6, 0xcd9e8d57
	s_mul_hi_u32 s6, s6, 0xcd9e8d57
	s_xor_b32 s15, s16, s15
	s_xor_b32 s8, s11, s8
	;; [unrolled: 1-line block ×4, first 2 shown]
	s_sub_nc_u64 s[6:7], s[12:13], s[0:1]
	v_dual_mov_b32 v0, s11 :: v_dual_lshlrev_b32 v5, 4, v4
	v_cmp_lt_i64_e64 s11, s[6:7], 1
	v_dual_mov_b32 v1, s10 :: v_dual_mov_b32 v2, s8
	v_mov_b32_e32 v3, s9
	s_and_b32 vcc_lo, exec_lo, s11
	ds_store_b128 v5, v[0:3]
	s_cbranch_vccnz .LBB6_11
; %bb.4:
	s_and_b32 s9, s14, 0xffff0000
	s_lshl_b32 s8, s14, 16
	s_delay_alu instid0(SALU_CYCLE_1) | instskip(NEXT) | instid1(SALU_CYCLE_3)
	s_sub_f32 s9, s9, s8
	s_bfe_u32 s10, s9, 0x10010
	s_delay_alu instid0(SALU_CYCLE_1) | instskip(NEXT) | instid1(SALU_CYCLE_1)
	s_add_co_i32 s10, s9, s10
	s_addk_co_i32 s10, 0x7fff
	s_delay_alu instid0(SALU_CYCLE_1)
	s_and_b32 s10, s10, 0xffff0000
	s_cmp_o_f32 s9, s9
	s_cselect_b32 s10, s10, 0x7fc00000
	s_cmp_eq_u64 s[6:7], 1
	s_cbranch_scc1 .LBB6_8
; %bb.5:
	s_mov_b32 s11, s10
	s_mov_b32 s9, s8
	v_mov_b64_e32 v[0:1], s[10:11]
	v_mov_b64_e32 v[2:3], s[8:9]
	s_and_b64 s[14:15], s[12:13], 1
	v_mov_b32_e32 v6, 0
	s_lshl_b64 s[0:1], s[0:1], 1
	s_sub_nc_u64 s[12:13], s[6:7], s[14:15]
	s_add_nc_u64 s[16:17], s[4:5], s[0:1]
	s_mov_b32 s18, 0x3b800000
	s_mov_b64 s[20:21], s[12:13]
.LBB6_6:                                ; =>This Inner Loop Header: Depth=1
	ds_load_b64 v[8:9], v5
	s_add_nc_u64 s[20:21], s[20:21], -2
	v_add_nc_u32_e32 v5, 8, v5
	s_cmp_lg_u64 s[20:21], 0
	s_wait_dscnt 0x0
	v_cvt_f32_ubyte0_e32 v9, v9
	v_cvt_f32_ubyte0_e32 v8, v8
	s_delay_alu instid0(VALU_DEP_1) | instskip(NEXT) | instid1(VALU_DEP_1)
	v_pk_mul_f32 v[8:9], v[8:9], s[18:19] op_sel_hi:[1,0]
	v_pk_fma_f32 v[8:9], v[0:1], v[8:9], v[2:3]
	s_delay_alu instid0(VALU_DEP_1) | instskip(SKIP_2) | instid1(VALU_DEP_3)
	v_dual_lshrrev_b32 v7, 16, v8 :: v_dual_lshrrev_b32 v10, 16, v9
	v_cmp_o_f32_e32 vcc_lo, v9, v9
	v_cmp_o_f32_e64 s0, v8, v8
	v_and_b32_e32 v10, 1, v10
	s_delay_alu instid0(VALU_DEP_1) | instskip(NEXT) | instid1(VALU_DEP_1)
	v_add3_u32 v10, v9, v10, 0x7fff
	v_dual_lshrrev_b32 v10, 16, v10 :: v_dual_bitop2_b32 v7, 1, v7 bitop3:0x40
	s_delay_alu instid0(VALU_DEP_1) | instskip(NEXT) | instid1(VALU_DEP_1)
	v_add3_u32 v7, v8, v7, 0x7fff
	v_dual_cndmask_b32 v8, 0x7fc0, v10 :: v_dual_lshrrev_b32 v7, 16, v7
	s_delay_alu instid0(VALU_DEP_1) | instskip(NEXT) | instid1(VALU_DEP_1)
	v_cndmask_b32_e64 v7, 0x7fc0, v7, s0
	v_perm_b32 v7, v8, v7, 0x5040100
	global_store_b32 v6, v7, s[16:17]
	s_wait_xcnt 0x0
	s_add_nc_u64 s[16:17], s[16:17], 4
	s_cbranch_scc1 .LBB6_6
; %bb.7:
	s_cmp_lg_u64 s[14:15], 0
	s_cselect_b32 s0, -1, 0
	s_delay_alu instid0(SALU_CYCLE_1)
	s_and_b32 vcc_lo, exec_lo, s0
	s_cbranch_vccnz .LBB6_9
	s_branch .LBB6_11
.LBB6_8:
	s_mov_b64 s[12:13], 0
	s_cbranch_execz .LBB6_11
.LBB6_9:
	v_dual_mov_b32 v1, 0 :: v_dual_lshlrev_b32 v0, 4, v4
	s_lshl_b64 s[0:1], s[2:3], 3
	s_lshl_b64 s[2:3], s[12:13], 1
	s_delay_alu instid0(SALU_CYCLE_1) | instskip(NEXT) | instid1(VALU_DEP_1)
	s_add_nc_u64 s[0:1], s[0:1], s[2:3]
	v_lshl_add_u32 v0, s12, 2, v0
	s_add_nc_u64 s[0:1], s[4:5], s[0:1]
.LBB6_10:                               ; =>This Inner Loop Header: Depth=1
	ds_load_b32 v2, v0
	s_add_nc_u64 s[12:13], s[12:13], 1
	v_add_nc_u32_e32 v0, 4, v0
	v_cmp_gt_i64_e64 s2, s[6:7], s[12:13]
	s_wait_dscnt 0x0
	v_cvt_f32_ubyte0_e32 v2, v2
	s_delay_alu instid0(VALU_DEP_1) | instskip(NEXT) | instid1(VALU_DEP_1)
	v_mul_f32_e32 v2, 0x3b800000, v2
	v_fma_f32 v2, s10, v2, s8
	s_delay_alu instid0(VALU_DEP_1) | instskip(SKIP_1) | instid1(VALU_DEP_2)
	v_bfe_u32 v3, v2, 16, 1
	v_cmp_o_f32_e32 vcc_lo, v2, v2
	v_add3_u32 v3, v2, v3, 0x7fff
	s_delay_alu instid0(VALU_DEP_1) | instskip(NEXT) | instid1(VALU_DEP_1)
	v_lshrrev_b32_e32 v3, 16, v3
	v_cndmask_b32_e32 v2, 0x7fc0, v3, vcc_lo
	s_and_b32 vcc_lo, exec_lo, s2
	global_store_b16 v1, v2, s[0:1]
	s_wait_xcnt 0x0
	s_add_nc_u64 s[0:1], s[0:1], 2
	s_cbranch_vccnz .LBB6_10
.LBB6_11:
	s_endpgm
	.section	.rodata,"a",@progbits
	.p2align	6, 0x0
	.amdhsa_kernel _ZN2at6native12_GLOBAL__N_124philox_single_key_kernelIN3c108BFloat16EZZZZNS0_21_philox_uniform_cuda_ERNS_6TensorERKS5_ddENKUlvE_clEvENKUlvE2_clEvENKUlvE_clEvEUlmmE0_ZZZNS0_21_philox_uniform_cuda_ES6_S8_ddENKS9_clEvENKSA_clEvEUlT_E_EEvPSD_PKmlT0_T1_
		.amdhsa_group_segment_fixed_size 16384
		.amdhsa_private_segment_fixed_size 0
		.amdhsa_kernarg_size 288
		.amdhsa_user_sgpr_count 4
		.amdhsa_user_sgpr_dispatch_ptr 1
		.amdhsa_user_sgpr_queue_ptr 0
		.amdhsa_user_sgpr_kernarg_segment_ptr 1
		.amdhsa_user_sgpr_dispatch_id 0
		.amdhsa_user_sgpr_kernarg_preload_length 0
		.amdhsa_user_sgpr_kernarg_preload_offset 0
		.amdhsa_user_sgpr_private_segment_size 0
		.amdhsa_wavefront_size32 1
		.amdhsa_uses_dynamic_stack 0
		.amdhsa_enable_private_segment 0
		.amdhsa_system_sgpr_workgroup_id_x 1
		.amdhsa_system_sgpr_workgroup_id_y 0
		.amdhsa_system_sgpr_workgroup_id_z 0
		.amdhsa_system_sgpr_workgroup_info 0
		.amdhsa_system_vgpr_workitem_id 2
		.amdhsa_next_free_vgpr 16
		.amdhsa_next_free_sgpr 29
		.amdhsa_named_barrier_count 0
		.amdhsa_reserve_vcc 1
		.amdhsa_float_round_mode_32 0
		.amdhsa_float_round_mode_16_64 0
		.amdhsa_float_denorm_mode_32 3
		.amdhsa_float_denorm_mode_16_64 3
		.amdhsa_fp16_overflow 0
		.amdhsa_memory_ordered 1
		.amdhsa_forward_progress 1
		.amdhsa_inst_pref_size 21
		.amdhsa_round_robin_scheduling 0
		.amdhsa_exception_fp_ieee_invalid_op 0
		.amdhsa_exception_fp_denorm_src 0
		.amdhsa_exception_fp_ieee_div_zero 0
		.amdhsa_exception_fp_ieee_overflow 0
		.amdhsa_exception_fp_ieee_underflow 0
		.amdhsa_exception_fp_ieee_inexact 0
		.amdhsa_exception_int_div_zero 0
	.end_amdhsa_kernel
	.section	.text._ZN2at6native12_GLOBAL__N_124philox_single_key_kernelIN3c108BFloat16EZZZZNS0_21_philox_uniform_cuda_ERNS_6TensorERKS5_ddENKUlvE_clEvENKUlvE2_clEvENKUlvE_clEvEUlmmE0_ZZZNS0_21_philox_uniform_cuda_ES6_S8_ddENKS9_clEvENKSA_clEvEUlT_E_EEvPSD_PKmlT0_T1_,"axG",@progbits,_ZN2at6native12_GLOBAL__N_124philox_single_key_kernelIN3c108BFloat16EZZZZNS0_21_philox_uniform_cuda_ERNS_6TensorERKS5_ddENKUlvE_clEvENKUlvE2_clEvENKUlvE_clEvEUlmmE0_ZZZNS0_21_philox_uniform_cuda_ES6_S8_ddENKS9_clEvENKSA_clEvEUlT_E_EEvPSD_PKmlT0_T1_,comdat
.Lfunc_end6:
	.size	_ZN2at6native12_GLOBAL__N_124philox_single_key_kernelIN3c108BFloat16EZZZZNS0_21_philox_uniform_cuda_ERNS_6TensorERKS5_ddENKUlvE_clEvENKUlvE2_clEvENKUlvE_clEvEUlmmE0_ZZZNS0_21_philox_uniform_cuda_ES6_S8_ddENKS9_clEvENKSA_clEvEUlT_E_EEvPSD_PKmlT0_T1_, .Lfunc_end6-_ZN2at6native12_GLOBAL__N_124philox_single_key_kernelIN3c108BFloat16EZZZZNS0_21_philox_uniform_cuda_ERNS_6TensorERKS5_ddENKUlvE_clEvENKUlvE2_clEvENKUlvE_clEvEUlmmE0_ZZZNS0_21_philox_uniform_cuda_ES6_S8_ddENKS9_clEvENKSA_clEvEUlT_E_EEvPSD_PKmlT0_T1_
                                        ; -- End function
	.set _ZN2at6native12_GLOBAL__N_124philox_single_key_kernelIN3c108BFloat16EZZZZNS0_21_philox_uniform_cuda_ERNS_6TensorERKS5_ddENKUlvE_clEvENKUlvE2_clEvENKUlvE_clEvEUlmmE0_ZZZNS0_21_philox_uniform_cuda_ES6_S8_ddENKS9_clEvENKSA_clEvEUlT_E_EEvPSD_PKmlT0_T1_.num_vgpr, 16
	.set _ZN2at6native12_GLOBAL__N_124philox_single_key_kernelIN3c108BFloat16EZZZZNS0_21_philox_uniform_cuda_ERNS_6TensorERKS5_ddENKUlvE_clEvENKUlvE2_clEvENKUlvE_clEvEUlmmE0_ZZZNS0_21_philox_uniform_cuda_ES6_S8_ddENKS9_clEvENKSA_clEvEUlT_E_EEvPSD_PKmlT0_T1_.num_agpr, 0
	.set _ZN2at6native12_GLOBAL__N_124philox_single_key_kernelIN3c108BFloat16EZZZZNS0_21_philox_uniform_cuda_ERNS_6TensorERKS5_ddENKUlvE_clEvENKUlvE2_clEvENKUlvE_clEvEUlmmE0_ZZZNS0_21_philox_uniform_cuda_ES6_S8_ddENKS9_clEvENKSA_clEvEUlT_E_EEvPSD_PKmlT0_T1_.numbered_sgpr, 29
	.set _ZN2at6native12_GLOBAL__N_124philox_single_key_kernelIN3c108BFloat16EZZZZNS0_21_philox_uniform_cuda_ERNS_6TensorERKS5_ddENKUlvE_clEvENKUlvE2_clEvENKUlvE_clEvEUlmmE0_ZZZNS0_21_philox_uniform_cuda_ES6_S8_ddENKS9_clEvENKSA_clEvEUlT_E_EEvPSD_PKmlT0_T1_.num_named_barrier, 0
	.set _ZN2at6native12_GLOBAL__N_124philox_single_key_kernelIN3c108BFloat16EZZZZNS0_21_philox_uniform_cuda_ERNS_6TensorERKS5_ddENKUlvE_clEvENKUlvE2_clEvENKUlvE_clEvEUlmmE0_ZZZNS0_21_philox_uniform_cuda_ES6_S8_ddENKS9_clEvENKSA_clEvEUlT_E_EEvPSD_PKmlT0_T1_.private_seg_size, 0
	.set _ZN2at6native12_GLOBAL__N_124philox_single_key_kernelIN3c108BFloat16EZZZZNS0_21_philox_uniform_cuda_ERNS_6TensorERKS5_ddENKUlvE_clEvENKUlvE2_clEvENKUlvE_clEvEUlmmE0_ZZZNS0_21_philox_uniform_cuda_ES6_S8_ddENKS9_clEvENKSA_clEvEUlT_E_EEvPSD_PKmlT0_T1_.uses_vcc, 1
	.set _ZN2at6native12_GLOBAL__N_124philox_single_key_kernelIN3c108BFloat16EZZZZNS0_21_philox_uniform_cuda_ERNS_6TensorERKS5_ddENKUlvE_clEvENKUlvE2_clEvENKUlvE_clEvEUlmmE0_ZZZNS0_21_philox_uniform_cuda_ES6_S8_ddENKS9_clEvENKSA_clEvEUlT_E_EEvPSD_PKmlT0_T1_.uses_flat_scratch, 0
	.set _ZN2at6native12_GLOBAL__N_124philox_single_key_kernelIN3c108BFloat16EZZZZNS0_21_philox_uniform_cuda_ERNS_6TensorERKS5_ddENKUlvE_clEvENKUlvE2_clEvENKUlvE_clEvEUlmmE0_ZZZNS0_21_philox_uniform_cuda_ES6_S8_ddENKS9_clEvENKSA_clEvEUlT_E_EEvPSD_PKmlT0_T1_.has_dyn_sized_stack, 0
	.set _ZN2at6native12_GLOBAL__N_124philox_single_key_kernelIN3c108BFloat16EZZZZNS0_21_philox_uniform_cuda_ERNS_6TensorERKS5_ddENKUlvE_clEvENKUlvE2_clEvENKUlvE_clEvEUlmmE0_ZZZNS0_21_philox_uniform_cuda_ES6_S8_ddENKS9_clEvENKSA_clEvEUlT_E_EEvPSD_PKmlT0_T1_.has_recursion, 0
	.set _ZN2at6native12_GLOBAL__N_124philox_single_key_kernelIN3c108BFloat16EZZZZNS0_21_philox_uniform_cuda_ERNS_6TensorERKS5_ddENKUlvE_clEvENKUlvE2_clEvENKUlvE_clEvEUlmmE0_ZZZNS0_21_philox_uniform_cuda_ES6_S8_ddENKS9_clEvENKSA_clEvEUlT_E_EEvPSD_PKmlT0_T1_.has_indirect_call, 0
	.section	.AMDGPU.csdata,"",@progbits
; Kernel info:
; codeLenInByte = 2656
; TotalNumSgprs: 31
; NumVgprs: 16
; ScratchSize: 0
; MemoryBound: 0
; FloatMode: 240
; IeeeMode: 1
; LDSByteSize: 16384 bytes/workgroup (compile time only)
; SGPRBlocks: 0
; VGPRBlocks: 0
; NumSGPRsForWavesPerEU: 31
; NumVGPRsForWavesPerEU: 16
; NamedBarCnt: 0
; Occupancy: 16
; WaveLimiterHint : 0
; COMPUTE_PGM_RSRC2:SCRATCH_EN: 0
; COMPUTE_PGM_RSRC2:USER_SGPR: 4
; COMPUTE_PGM_RSRC2:TRAP_HANDLER: 0
; COMPUTE_PGM_RSRC2:TGID_X_EN: 1
; COMPUTE_PGM_RSRC2:TGID_Y_EN: 0
; COMPUTE_PGM_RSRC2:TGID_Z_EN: 0
; COMPUTE_PGM_RSRC2:TIDIG_COMP_CNT: 2
	.section	.text._ZN2at6native12_GLOBAL__N_123philox_multi_key_kernelIN3c108BFloat16EZZZZNS0_21_philox_uniform_cuda_ERNS_6TensorERKS5_ddENKUlvE_clEvENKUlvE2_clEvENKUlvE_clEvEUlmmE0_ZZZNS0_21_philox_uniform_cuda_ES6_S8_ddENKS9_clEvENKSA_clEvEUlT_E_EEvPSD_PKmllT0_T1_16OffsetCalculatorILi1EjLb0EE,"axG",@progbits,_ZN2at6native12_GLOBAL__N_123philox_multi_key_kernelIN3c108BFloat16EZZZZNS0_21_philox_uniform_cuda_ERNS_6TensorERKS5_ddENKUlvE_clEvENKUlvE2_clEvENKUlvE_clEvEUlmmE0_ZZZNS0_21_philox_uniform_cuda_ES6_S8_ddENKS9_clEvENKSA_clEvEUlT_E_EEvPSD_PKmllT0_T1_16OffsetCalculatorILi1EjLb0EE,comdat
	.globl	_ZN2at6native12_GLOBAL__N_123philox_multi_key_kernelIN3c108BFloat16EZZZZNS0_21_philox_uniform_cuda_ERNS_6TensorERKS5_ddENKUlvE_clEvENKUlvE2_clEvENKUlvE_clEvEUlmmE0_ZZZNS0_21_philox_uniform_cuda_ES6_S8_ddENKS9_clEvENKSA_clEvEUlT_E_EEvPSD_PKmllT0_T1_16OffsetCalculatorILi1EjLb0EE ; -- Begin function _ZN2at6native12_GLOBAL__N_123philox_multi_key_kernelIN3c108BFloat16EZZZZNS0_21_philox_uniform_cuda_ERNS_6TensorERKS5_ddENKUlvE_clEvENKUlvE2_clEvENKUlvE_clEvEUlmmE0_ZZZNS0_21_philox_uniform_cuda_ES6_S8_ddENKS9_clEvENKSA_clEvEUlT_E_EEvPSD_PKmllT0_T1_16OffsetCalculatorILi1EjLb0EE
	.p2align	8
	.type	_ZN2at6native12_GLOBAL__N_123philox_multi_key_kernelIN3c108BFloat16EZZZZNS0_21_philox_uniform_cuda_ERNS_6TensorERKS5_ddENKUlvE_clEvENKUlvE2_clEvENKUlvE_clEvEUlmmE0_ZZZNS0_21_philox_uniform_cuda_ES6_S8_ddENKS9_clEvENKSA_clEvEUlT_E_EEvPSD_PKmllT0_T1_16OffsetCalculatorILi1EjLb0EE,@function
_ZN2at6native12_GLOBAL__N_123philox_multi_key_kernelIN3c108BFloat16EZZZZNS0_21_philox_uniform_cuda_ERNS_6TensorERKS5_ddENKUlvE_clEvENKUlvE2_clEvENKUlvE_clEvEUlmmE0_ZZZNS0_21_philox_uniform_cuda_ES6_S8_ddENKS9_clEvENKSA_clEvEUlT_E_EEvPSD_PKmllT0_T1_16OffsetCalculatorILi1EjLb0EE: ; @_ZN2at6native12_GLOBAL__N_123philox_multi_key_kernelIN3c108BFloat16EZZZZNS0_21_philox_uniform_cuda_ERNS_6TensorERKS5_ddENKUlvE_clEvENKUlvE2_clEvENKUlvE_clEvEUlmmE0_ZZZNS0_21_philox_uniform_cuda_ES6_S8_ddENKS9_clEvENKSA_clEvEUlT_E_EEvPSD_PKmllT0_T1_16OffsetCalculatorILi1EjLb0EE
; %bb.0:
	s_clause 0x1
	s_load_b128 s[4:7], s[0:1], 0x10
	s_load_b32 s10, s[0:1], 0x13c
	s_bfe_u32 s2, ttmp6, 0x4000c
	v_mov_b32_e32 v2, 0
	s_add_co_i32 s2, s2, 1
	s_mov_b32 s3, 0
	s_mul_i32 s14, ttmp9, s2
	s_and_b32 s11, ttmp6, 15
	s_getreg_b32 s12, hwreg(HW_REG_IB_STS2, 6, 4)
	v_mov_b32_e32 v1, v2
	s_add_co_i32 s11, s11, s14
	s_wait_kmcnt 0x0
	s_add_nc_u64 s[8:9], s[6:7], 3
	s_and_b32 s10, s10, 0xffff
	s_ashr_i32 s13, s9, 31
	s_delay_alu instid0(SALU_CYCLE_1) | instskip(NEXT) | instid1(SALU_CYCLE_1)
	s_lshr_b32 s2, s13, 30
	s_add_nc_u64 s[2:3], s[8:9], s[2:3]
	s_delay_alu instid0(SALU_CYCLE_1) | instskip(SKIP_2) | instid1(SALU_CYCLE_1)
	s_ashr_i64 s[8:9], s[2:3], 2
	s_cmp_eq_u32 s12, 0
	s_cselect_b32 s2, ttmp9, s11
	v_mad_nc_u64_u32 v[0:1], s10, s2, v[0:1]
	s_mul_u64 s[2:3], s[8:9], s[4:5]
	s_delay_alu instid0(VALU_DEP_1) | instid1(SALU_CYCLE_1)
	v_cmp_gt_i64_e32 vcc_lo, s[2:3], v[0:1]
	s_and_saveexec_b32 s2, vcc_lo
	s_cbranch_execz .LBB7_27
; %bb.1:
	global_load_b32 v4, v2, s[0:1] offset:34
	v_or_b32_e32 v3, s9, v1
	s_delay_alu instid0(VALU_DEP_1) | instskip(SKIP_3) | instid1(SALU_CYCLE_1)
	v_cmp_ne_u64_e32 vcc_lo, 0, v[2:3]
                                        ; implicit-def: $vgpr2_vgpr3
	s_wait_loadcnt 0x0
	v_readfirstlane_b32 s16, v4
	s_and_saveexec_b32 s2, vcc_lo
	s_xor_b32 s3, exec_lo, s2
	s_cbranch_execz .LBB7_3
; %bb.2:
	s_ashr_i32 s4, s9, 31
	s_mov_b32 s21, 0
	s_mov_b32 s5, s4
	v_dual_mov_b32 v7, 0 :: v_dual_ashrrev_i32 v2, 31, v1
	s_add_nc_u64 s[10:11], s[8:9], s[4:5]
	s_delay_alu instid0(SALU_CYCLE_1) | instskip(NEXT) | instid1(VALU_DEP_1)
	s_xor_b64 s[10:11], s[10:11], s[4:5]
	v_mov_b32_e32 v3, v2
	s_cvt_f32_u32 s2, s10
	s_cvt_f32_u32 s5, s11
	s_sub_nc_u64 s[14:15], 0, s[10:11]
	s_delay_alu instid0(VALU_DEP_1) | instskip(NEXT) | instid1(SALU_CYCLE_1)
	v_add_nc_u64_e32 v[4:5], v[0:1], v[2:3]
	s_fmamk_f32 s2, s5, 0x4f800000, s2
	v_mov_b32_e32 v9, v7
	s_delay_alu instid0(SALU_CYCLE_2) | instskip(NEXT) | instid1(VALU_DEP_2)
	v_s_rcp_f32 s2, s2
	v_xor_b32_e32 v6, v4, v2
	s_delay_alu instid0(VALU_DEP_3) | instskip(SKIP_1) | instid1(TRANS32_DEP_1)
	v_dual_mov_b32 v15, v7 :: v_dual_bitop2_b32 v8, v5, v2 bitop3:0x14
	v_xor_b32_e32 v2, s4, v2
	s_mul_f32 s2, s2, 0x5f7ffffc
	s_delay_alu instid0(SALU_CYCLE_3) | instskip(NEXT) | instid1(SALU_CYCLE_3)
	s_mul_f32 s5, s2, 0x2f800000
	s_trunc_f32 s5, s5
	s_delay_alu instid0(SALU_CYCLE_3) | instskip(SKIP_1) | instid1(SALU_CYCLE_2)
	s_fmamk_f32 s2, s5, 0xcf800000, s2
	s_cvt_u32_f32 s13, s5
	s_cvt_u32_f32 s12, s2
	s_delay_alu instid0(SALU_CYCLE_3) | instskip(NEXT) | instid1(SALU_CYCLE_1)
	s_mul_u64 s[18:19], s[14:15], s[12:13]
	s_mul_hi_u32 s23, s12, s19
	s_mul_i32 s22, s12, s19
	s_mul_hi_u32 s20, s12, s18
	s_mul_i32 s5, s13, s18
	s_add_nc_u64 s[22:23], s[20:21], s[22:23]
	s_mul_hi_u32 s2, s13, s18
	s_mul_hi_u32 s17, s13, s19
	s_add_co_u32 s5, s22, s5
	s_add_co_ci_u32 s20, s23, s2
	s_mul_i32 s18, s13, s19
	s_add_co_ci_u32 s19, s17, 0
	s_delay_alu instid0(SALU_CYCLE_1) | instskip(NEXT) | instid1(SALU_CYCLE_1)
	s_add_nc_u64 s[18:19], s[20:21], s[18:19]
	s_add_co_u32 s12, s12, s18
	s_cselect_b32 s2, -1, 0
	s_delay_alu instid0(SALU_CYCLE_1) | instskip(SKIP_1) | instid1(SALU_CYCLE_1)
	s_cmp_lg_u32 s2, 0
	s_add_co_ci_u32 s13, s13, s19
	s_mul_u64 s[14:15], s[14:15], s[12:13]
	s_delay_alu instid0(SALU_CYCLE_1)
	s_mul_hi_u32 s19, s12, s15
	s_mul_i32 s18, s12, s15
	s_mul_hi_u32 s20, s12, s14
	s_mul_i32 s5, s13, s14
	s_add_nc_u64 s[18:19], s[20:21], s[18:19]
	s_mul_hi_u32 s2, s13, s14
	s_mul_hi_u32 s17, s13, s15
	s_add_co_u32 s5, s18, s5
	s_add_co_ci_u32 s20, s19, s2
	s_mul_i32 s14, s13, s15
	s_add_co_ci_u32 s15, s17, 0
	s_delay_alu instid0(SALU_CYCLE_1) | instskip(NEXT) | instid1(SALU_CYCLE_1)
	s_add_nc_u64 s[14:15], s[20:21], s[14:15]
	s_add_co_u32 s2, s12, s14
	s_cselect_b32 s5, -1, 0
	v_mul_hi_u32 v14, v6, s2
	s_cmp_lg_u32 s5, 0
	s_add_co_ci_u32 s20, s13, s15
	s_mov_b64 s[12:13], 0xffffffff
	v_mul_u64_e32 v[10:11], s[20:21], v[6:7]
	s_and_b64 s[12:13], s[2:3], s[12:13]
	v_mul_u64_e32 v[12:13], s[20:21], v[8:9]
	v_mul_u64_e32 v[4:5], s[12:13], v[8:9]
	s_delay_alu instid0(VALU_DEP_3) | instskip(NEXT) | instid1(VALU_DEP_1)
	v_add_nc_u64_e32 v[10:11], v[14:15], v[10:11]
	v_add_co_u32 v3, vcc_lo, v10, v4
	s_delay_alu instid0(VALU_DEP_2) | instskip(SKIP_1) | instid1(VALU_DEP_1)
	v_add_co_ci_u32_e32 v14, vcc_lo, v11, v5, vcc_lo
	v_add_co_ci_u32_e32 v13, vcc_lo, 0, v13, vcc_lo
	v_add_nc_u64_e32 v[4:5], v[14:15], v[12:13]
	s_delay_alu instid0(VALU_DEP_1) | instskip(NEXT) | instid1(VALU_DEP_1)
	v_mul_u64_e32 v[10:11], s[10:11], v[4:5]
	v_sub_nc_u32_e32 v3, v8, v11
	s_delay_alu instid0(VALU_DEP_2) | instskip(NEXT) | instid1(VALU_DEP_1)
	v_sub_co_u32 v6, vcc_lo, v6, v10
	v_sub_co_ci_u32_e64 v10, null, v8, v11, vcc_lo
	s_delay_alu instid0(VALU_DEP_3) | instskip(NEXT) | instid1(VALU_DEP_3)
	v_subrev_co_ci_u32_e64 v3, null, s11, v3, vcc_lo
	v_sub_co_u32 v7, s2, v6, s10
	s_delay_alu instid0(VALU_DEP_1) | instskip(NEXT) | instid1(VALU_DEP_2)
	v_subrev_co_ci_u32_e64 v3, null, 0, v3, s2
	v_cmp_le_u32_e32 vcc_lo, s10, v7
	v_cndmask_b32_e64 v7, 0, -1, vcc_lo
	s_delay_alu instid0(VALU_DEP_3)
	v_cmp_le_u32_e32 vcc_lo, s11, v3
	v_cndmask_b32_e64 v8, 0, -1, vcc_lo
	v_cmp_le_u32_e32 vcc_lo, s10, v6
	v_cndmask_b32_e64 v11, 0, -1, vcc_lo
	;; [unrolled: 2-line block ×3, first 2 shown]
	v_cmp_eq_u32_e32 vcc_lo, s11, v3
	v_cndmask_b32_e32 v3, v8, v7, vcc_lo
	v_cmp_eq_u32_e32 vcc_lo, s11, v10
	v_add_nc_u64_e32 v[6:7], 2, v[4:5]
	v_add_nc_u64_e32 v[8:9], 1, v[4:5]
	v_cndmask_b32_e32 v10, v12, v11, vcc_lo
	v_cmp_ne_u32_e32 vcc_lo, 0, v3
	s_delay_alu instid0(VALU_DEP_2) | instskip(NEXT) | instid1(VALU_DEP_4)
	v_cmp_ne_u32_e64 s2, 0, v10
	v_dual_cndmask_b32 v6, v8, v6 :: v_dual_cndmask_b32 v3, v9, v7
	s_delay_alu instid0(VALU_DEP_1) | instskip(NEXT) | instid1(VALU_DEP_1)
	v_dual_cndmask_b32 v4, v4, v6, s2 :: v_dual_cndmask_b32 v5, v5, v3, s2
	v_dual_mov_b32 v3, v2 :: v_dual_bitop2_b32 v4, v4, v2 bitop3:0x14
	s_delay_alu instid0(VALU_DEP_2) | instskip(NEXT) | instid1(VALU_DEP_1)
	v_xor_b32_e32 v5, v5, v2
	v_sub_nc_u64_e32 v[2:3], v[4:5], v[2:3]
.LBB7_3:
	s_and_not1_saveexec_b32 s2, s3
	s_cbranch_execz .LBB7_5
; %bb.4:
	v_cvt_f32_u32_e32 v2, s8
	s_sub_co_i32 s3, 0, s8
	s_delay_alu instid0(VALU_DEP_1) | instskip(SKIP_1) | instid1(TRANS32_DEP_1)
	v_rcp_iflag_f32_e32 v2, v2
	v_nop
	v_mul_f32_e32 v2, 0x4f7ffffe, v2
	s_delay_alu instid0(VALU_DEP_1) | instskip(NEXT) | instid1(VALU_DEP_1)
	v_cvt_u32_f32_e32 v2, v2
	v_mul_lo_u32 v3, s3, v2
	s_delay_alu instid0(VALU_DEP_1) | instskip(NEXT) | instid1(VALU_DEP_1)
	v_mul_hi_u32 v3, v2, v3
	v_add_nc_u32_e32 v2, v2, v3
	s_delay_alu instid0(VALU_DEP_1) | instskip(NEXT) | instid1(VALU_DEP_1)
	v_mul_hi_u32 v2, v0, v2
	v_mul_lo_u32 v3, v2, s8
	s_delay_alu instid0(VALU_DEP_1) | instskip(NEXT) | instid1(VALU_DEP_1)
	v_dual_add_nc_u32 v4, 1, v2 :: v_dual_sub_nc_u32 v3, v0, v3
	v_subrev_nc_u32_e32 v5, s8, v3
	v_cmp_le_u32_e32 vcc_lo, s8, v3
	s_delay_alu instid0(VALU_DEP_2) | instskip(NEXT) | instid1(VALU_DEP_1)
	v_dual_cndmask_b32 v3, v3, v5 :: v_dual_cndmask_b32 v2, v2, v4
	v_cmp_le_u32_e32 vcc_lo, s8, v3
	s_delay_alu instid0(VALU_DEP_2) | instskip(NEXT) | instid1(VALU_DEP_1)
	v_dual_mov_b32 v3, 0 :: v_dual_add_nc_u32 v4, 1, v2
	v_cndmask_b32_e32 v2, v2, v4, vcc_lo
.LBB7_5:
	s_or_b32 exec_lo, exec_lo, s2
	s_clause 0x1
	s_load_b32 s17, s[0:1], 0x28
	s_load_b64 s[2:3], s[0:1], 0x8
	s_add_nc_u64 s[4:5], s[0:1], 40
	s_mov_b32 s18, -1
                                        ; implicit-def: $vgpr6
	s_wait_kmcnt 0x0
	s_add_co_i32 s10, s17, -1
	s_delay_alu instid0(SALU_CYCLE_1)
	s_cmp_lt_u32 s10, 2
	s_cbranch_scc1 .LBB7_15
; %bb.6:
	s_cmp_lg_u32 s17, 0
	s_mov_b32 s18, 0
	s_cbranch_scc0 .LBB7_11
; %bb.7:
	s_min_u32 s11, s10, 15
	s_delay_alu instid0(SALU_CYCLE_1)
	s_add_co_i32 s11, s11, 1
	s_cmp_eq_u32 s10, 2
	s_cbranch_scc1 .LBB7_12
; %bb.8:
	v_dual_mov_b32 v6, 0 :: v_dual_mov_b32 v4, v2
	s_and_b32 s10, s11, 28
	s_add_nc_u64 s[12:13], s[4:5], 0xc4
	s_mov_b32 s19, 0
	s_mov_b64 s[14:15], s[4:5]
.LBB7_9:                                ; =>This Inner Loop Header: Depth=1
	s_clause 0x1
	s_load_b256 s[20:27], s[14:15], 0x4
	s_load_b128 s[28:31], s[14:15], 0x24
	s_load_b128 s[36:39], s[12:13], 0x0
	s_add_co_i32 s19, s19, 4
	s_wait_xcnt 0x0
	s_add_nc_u64 s[14:15], s[14:15], 48
	s_cmp_lg_u32 s10, s19
	s_add_nc_u64 s[12:13], s[12:13], 16
	s_wait_kmcnt 0x0
	v_mul_hi_u32 v5, s21, v4
	s_delay_alu instid0(VALU_DEP_1) | instskip(NEXT) | instid1(VALU_DEP_1)
	v_add_nc_u32_e32 v5, v4, v5
	v_lshrrev_b32_e32 v5, s22, v5
	s_delay_alu instid0(VALU_DEP_1) | instskip(NEXT) | instid1(VALU_DEP_1)
	v_mul_hi_u32 v7, s24, v5
	v_add_nc_u32_e32 v7, v5, v7
	s_delay_alu instid0(VALU_DEP_1) | instskip(NEXT) | instid1(VALU_DEP_1)
	v_lshrrev_b32_e32 v7, s25, v7
	v_mul_hi_u32 v8, s27, v7
	s_delay_alu instid0(VALU_DEP_1) | instskip(SKIP_1) | instid1(VALU_DEP_2)
	v_add_nc_u32_e32 v8, v7, v8
	v_mul_lo_u32 v9, v5, s20
	v_lshrrev_b32_e32 v8, s28, v8
	s_delay_alu instid0(VALU_DEP_1) | instskip(NEXT) | instid1(VALU_DEP_3)
	v_mul_hi_u32 v10, s30, v8
	v_sub_nc_u32_e32 v4, v4, v9
	v_mul_lo_u32 v9, v7, s23
	s_delay_alu instid0(VALU_DEP_1) | instskip(NEXT) | instid1(VALU_DEP_3)
	v_sub_nc_u32_e32 v5, v5, v9
	v_mad_u32 v4, v4, s36, v6
	v_mul_lo_u32 v6, v8, s26
	v_add_nc_u32_e32 v9, v8, v10
	s_delay_alu instid0(VALU_DEP_3) | instskip(NEXT) | instid1(VALU_DEP_2)
	v_mad_u32 v5, v5, s37, v4
	v_dual_lshrrev_b32 v4, s31, v9 :: v_dual_sub_nc_u32 v6, v7, v6
	s_delay_alu instid0(VALU_DEP_1) | instskip(NEXT) | instid1(VALU_DEP_2)
	v_mul_lo_u32 v7, v4, s29
	v_mad_u32 v5, v6, s38, v5
	s_delay_alu instid0(VALU_DEP_2) | instskip(NEXT) | instid1(VALU_DEP_1)
	v_sub_nc_u32_e32 v6, v8, v7
	v_mad_u32 v6, v6, s39, v5
	s_cbranch_scc1 .LBB7_9
; %bb.10:
	s_and_b32 s14, s11, 3
	s_mov_b32 s11, 0
	s_cmp_eq_u32 s14, 0
	s_cbranch_scc0 .LBB7_13
	s_branch .LBB7_15
.LBB7_11:
	v_mov_b32_e32 v6, 0
	s_branch .LBB7_15
.LBB7_12:
	v_dual_mov_b32 v6, 0 :: v_dual_mov_b32 v4, v2
	s_mov_b32 s10, 0
	s_and_b32 s14, s11, 3
	s_mov_b32 s11, 0
	s_cmp_eq_u32 s14, 0
	s_cbranch_scc1 .LBB7_15
.LBB7_13:
	s_lshl_b32 s12, s10, 2
	s_mov_b32 s13, s11
	s_mul_u64 s[20:21], s[10:11], 12
	s_add_nc_u64 s[12:13], s[4:5], s[12:13]
	s_delay_alu instid0(SALU_CYCLE_1)
	s_add_nc_u64 s[10:11], s[12:13], 0xc4
	s_add_nc_u64 s[12:13], s[4:5], s[20:21]
.LBB7_14:                               ; =>This Inner Loop Header: Depth=1
	s_load_b96 s[20:22], s[12:13], 0x4
	s_load_b32 s15, s[10:11], 0x0
	s_add_co_i32 s14, s14, -1
	s_wait_xcnt 0x0
	s_add_nc_u64 s[12:13], s[12:13], 12
	s_cmp_lg_u32 s14, 0
	s_add_nc_u64 s[10:11], s[10:11], 4
	s_wait_kmcnt 0x0
	v_mul_hi_u32 v5, s21, v4
	s_delay_alu instid0(VALU_DEP_1) | instskip(NEXT) | instid1(VALU_DEP_1)
	v_add_nc_u32_e32 v5, v4, v5
	v_lshrrev_b32_e32 v5, s22, v5
	s_delay_alu instid0(VALU_DEP_1) | instskip(NEXT) | instid1(VALU_DEP_1)
	v_mul_lo_u32 v7, v5, s20
	v_sub_nc_u32_e32 v4, v4, v7
	s_delay_alu instid0(VALU_DEP_1)
	v_mad_u32 v6, v4, s15, v6
	v_mov_b32_e32 v4, v5
	s_cbranch_scc1 .LBB7_14
.LBB7_15:
	s_and_not1_b32 vcc_lo, exec_lo, s18
	s_cbranch_vccnz .LBB7_18
; %bb.16:
	s_clause 0x1
	s_load_b96 s[12:14], s[4:5], 0x4
	s_load_b32 s15, s[4:5], 0xc4
	v_dual_mov_b32 v5, 0 :: v_dual_mov_b32 v4, v2
	s_mov_b32 s11, 0
	s_cmp_lt_u32 s17, 2
	s_wait_kmcnt 0x0
	s_mov_b32 s10, s13
	s_delay_alu instid0(SALU_CYCLE_1) | instskip(NEXT) | instid1(VALU_DEP_1)
	v_mul_u64_e32 v[4:5], s[10:11], v[4:5]
	v_add_nc_u32_e32 v4, v5, v2
	s_delay_alu instid0(VALU_DEP_1) | instskip(NEXT) | instid1(VALU_DEP_1)
	v_lshrrev_b32_e32 v4, s14, v4
	v_mul_lo_u32 v5, v4, s12
	s_delay_alu instid0(VALU_DEP_1) | instskip(NEXT) | instid1(VALU_DEP_1)
	v_sub_nc_u32_e32 v5, v2, v5
	v_mul_lo_u32 v6, v5, s15
	s_cbranch_scc1 .LBB7_18
; %bb.17:
	s_clause 0x1
	s_load_b96 s[12:14], s[4:5], 0x10
	s_load_b32 s10, s[4:5], 0xc8
	s_wait_kmcnt 0x0
	v_mul_hi_u32 v5, s13, v4
	s_delay_alu instid0(VALU_DEP_1) | instskip(NEXT) | instid1(VALU_DEP_1)
	v_add_nc_u32_e32 v5, v4, v5
	v_lshrrev_b32_e32 v5, s14, v5
	s_delay_alu instid0(VALU_DEP_1) | instskip(NEXT) | instid1(VALU_DEP_1)
	v_mul_lo_u32 v5, v5, s12
	v_sub_nc_u32_e32 v4, v4, v5
	s_delay_alu instid0(VALU_DEP_1)
	v_mad_u32 v6, v4, s10, v6
.LBB7_18:
	s_delay_alu instid0(VALU_DEP_1)
	v_add_nc_u32_e32 v7, 1, v6
	s_mov_b64 s[4:5], 0xcd9e8d57
	s_clause 0x1
	global_load_b64 v[8:9], v7, s[2:3] scale_offset
	global_load_b64 v[4:5], v6, s[2:3] scale_offset
	s_wait_xcnt 0x0
	v_mul_u64_e32 v[6:7], s[8:9], v[2:3]
	s_mov_b64 s[2:3], 0xd2511f53
	s_mov_b32 s9, 0
	s_delay_alu instid0(VALU_DEP_1) | instskip(SKIP_1) | instid1(VALU_DEP_1)
	v_sub_nc_u64_e32 v[0:1], v[0:1], v[6:7]
	s_wait_loadcnt 0x1
	v_add_nc_u64_e32 v[6:7], v[8:9], v[0:1]
	s_wait_loadcnt 0x0
	v_dual_mov_b32 v9, 0 :: v_dual_add_nc_u32 v16, 0xdb3d7428, v5
	v_add_nc_u32_e32 v17, 0xf1bbcdc8, v4
	s_delay_alu instid0(VALU_DEP_2) | instskip(NEXT) | instid1(VALU_DEP_4)
	v_dual_mov_b32 v13, v9 :: v_dual_mov_b32 v8, v6
	v_xor_b32_e32 v12, v7, v4
	v_mul_lo_u32 v6, 0xd2511f53, v6
	v_add_nc_u32_e32 v7, 0xbb67ae85, v5
	s_delay_alu instid0(VALU_DEP_4) | instskip(NEXT) | instid1(VALU_DEP_1)
	v_mul_u64_e32 v[10:11], s[2:3], v[8:9]
	v_xor_b32_e32 v8, v11, v5
	v_mul_u64_e32 v[10:11], s[2:3], v[12:13]
	v_add_nc_u32_e32 v13, 0x76cf5d0a, v5
	s_and_b64 s[2:3], s[6:7], 3
	s_delay_alu instid0(VALU_DEP_3)
	v_mul_u64_e32 v[14:15], s[4:5], v[8:9]
	v_add_nc_u32_e32 v9, 0x9e3779b9, v4
	v_mul_lo_u32 v8, 0xcd9e8d57, v8
	v_add_nc_u32_e32 v14, 0x5384540f, v4
	s_and_b32 s5, s16, 0xffff0000
	s_cmp_lg_u64 s[2:3], 0
	s_cselect_b32 s10, -1, 0
	s_ashr_i32 s2, s7, 31
	s_lshl_b32 s4, s16, 16
	s_lshr_b32 s8, s2, 30
	s_load_b64 s[2:3], s[0:1], 0x0
	s_wait_xcnt 0x0
	s_add_nc_u64 s[0:1], s[6:7], s[8:9]
	s_sub_f32 s5, s5, s4
	s_ashr_i64 s[0:1], s[0:1], 2
	s_delay_alu instid0(SALU_CYCLE_1) | instskip(NEXT) | instid1(SALU_CYCLE_1)
	v_cmp_le_i64_e32 vcc_lo, s[0:1], v[0:1]
	s_bfe_u32 s8, s5, 0x10010
	s_delay_alu instid0(SALU_CYCLE_1) | instskip(NEXT) | instid1(SALU_CYCLE_1)
	s_add_co_i32 s8, s5, s8
	s_addk_co_i32 s8, 0x7fff
	s_delay_alu instid0(SALU_CYCLE_1)
	s_and_b32 s0, s8, 0xffff0000
	s_or_b32 s1, s10, vcc_lo
	s_cmp_o_f32 s5, s5
	v_xor3_b32 v6, v6, v7, v11
	s_cselect_b32 s8, s0, 0x7fc00000
	v_xor_b32_e32 v7, v9, v15
	v_mul_lo_u32 v9, 0xd2511f53, v12
	s_delay_alu instid0(VALU_DEP_3)
	v_mul_hi_u32 v10, 0xcd9e8d57, v6
	v_add_nc_u32_e32 v12, 0x3c6ef372, v4
	v_mul_lo_u32 v6, 0xcd9e8d57, v6
	v_mul_hi_u32 v11, 0xd2511f53, v7
	v_mul_lo_u32 v7, 0xd2511f53, v7
	v_add_nc_u32_e32 v15, 0x1fd5c5a3, v5
	v_xor3_b32 v8, v8, v12, v10
	v_add_nc_u32_e32 v12, 0xdaa66d2b, v4
	v_xor3_b32 v9, v9, v13, v11
	v_add_nc_u32_e32 v13, 0x32370b8f, v5
	s_delay_alu instid0(VALU_DEP_4) | instskip(SKIP_1) | instid1(VALU_DEP_4)
	v_mul_hi_u32 v10, 0xd2511f53, v8
	v_mul_lo_u32 v8, 0xd2511f53, v8
	v_mul_hi_u32 v11, 0xcd9e8d57, v9
	v_mul_lo_u32 v9, 0xcd9e8d57, v9
	s_delay_alu instid0(VALU_DEP_4) | instskip(SKIP_1) | instid1(VALU_DEP_4)
	v_xor3_b32 v7, v7, v13, v10
	v_add_nc_u32_e32 v13, 0x78dde6e4, v4
	v_xor3_b32 v6, v6, v12, v11
	v_add_nc_u32_e32 v12, 0xed9eba14, v5
	s_delay_alu instid0(VALU_DEP_4) | instskip(SKIP_1) | instid1(VALU_DEP_4)
	v_mul_hi_u32 v11, 0xcd9e8d57, v7
	v_mul_lo_u32 v7, 0xcd9e8d57, v7
	v_mul_hi_u32 v10, 0xd2511f53, v6
	v_mul_lo_u32 v6, 0xd2511f53, v6
	s_delay_alu instid0(VALU_DEP_4) | instskip(SKIP_1) | instid1(VALU_DEP_4)
	;; [unrolled: 10-line block ×3, first 2 shown]
	v_xor3_b32 v6, v6, v13, v11
	v_add_nc_u32_e32 v13, 0xb54cda56, v4
	v_xor3_b32 v7, v7, v12, v10
	v_add_nc_u32_e32 v12, 0x646e171e, v5
	s_delay_alu instid0(VALU_DEP_4) | instskip(NEXT) | instid1(VALU_DEP_3)
	v_mul_hi_u32 v11, 0xcd9e8d57, v6
	v_mul_hi_u32 v10, 0xd2511f53, v7
	s_delay_alu instid0(VALU_DEP_2) | instskip(SKIP_1) | instid1(VALU_DEP_3)
	v_xor3_b32 v11, v8, v13, v11
	v_mul_lo_u32 v8, 0xcd9e8d57, v6
	v_xor3_b32 v10, v9, v12, v10
	v_mul_lo_u32 v9, 0xd2511f53, v7
	s_delay_alu instid0(VALU_DEP_4)
	v_mul_hi_u32 v13, 0xd2511f53, v11
	v_lshlrev_b64_e32 v[6:7], 2, v[0:1]
	v_mul_lo_u32 v11, 0xd2511f53, v11
	v_mul_hi_u32 v12, 0xcd9e8d57, v10
	v_mul_lo_u32 v10, 0xcd9e8d57, v10
	v_add_nc_u32_e32 v0, 0x8ff34781, v4
	v_add_nc_u32_e32 v1, 0x96a522ad, v5
	v_xor3_b32 v13, v9, v15, v13
	v_xor3_b32 v12, v8, v14, v12
	v_mad_nc_u64_u32 v[8:9], v2, s6, v[6:7]
	s_delay_alu instid0(VALU_DEP_3) | instskip(SKIP_1) | instid1(VALU_DEP_4)
	v_mul_hi_u32 v15, 0xcd9e8d57, v13
	v_mul_lo_u32 v13, 0xcd9e8d57, v13
	v_mul_hi_u32 v14, 0xd2511f53, v12
	v_mul_lo_u32 v12, 0xd2511f53, v12
	v_mad_u32 v3, v3, s6, v9
	v_xor3_b32 v10, v10, v17, v15
	s_delay_alu instid0(VALU_DEP_4) | instskip(NEXT) | instid1(VALU_DEP_2)
	v_xor3_b32 v11, v11, v16, v14
	v_mul_hi_u32 v15, 0xd2511f53, v10
	s_delay_alu instid0(VALU_DEP_2)
	v_mul_hi_u32 v14, 0xcd9e8d57, v11
	v_mul_lo_u32 v4, 0xcd9e8d57, v11
	v_mad_u32 v9, v2, s7, v3
	v_mul_lo_u32 v2, 0xd2511f53, v10
	v_xor3_b32 v3, v12, v1, v15
	v_xor3_b32 v0, v13, v0, v14
	s_and_saveexec_b32 s0, s1
	s_delay_alu instid0(SALU_CYCLE_1)
	s_xor_b32 s1, exec_lo, s0
	s_cbranch_execz .LBB7_25
; %bb.19:
	s_mov_b32 s5, exec_lo
	v_cmpx_gt_i64_e64 s[6:7], v[6:7]
	s_cbranch_execz .LBB7_24
; %bb.20:
	v_cvt_f32_ubyte0_e32 v0, v0
	s_delay_alu instid0(VALU_DEP_1) | instskip(NEXT) | instid1(VALU_DEP_1)
	v_dual_mov_b32 v11, v7 :: v_dual_mul_f32 v0, 0x3b800000, v0
	v_fma_f32 v5, s8, v0, s4
	s_delay_alu instid0(VALU_DEP_1) | instskip(SKIP_1) | instid1(VALU_DEP_2)
	v_bfe_u32 v0, v5, 16, 1
	v_cmp_o_f32_e64 s0, v5, v5
	v_add3_u32 v0, v5, v0, 0x7fff
	s_delay_alu instid0(VALU_DEP_1) | instskip(NEXT) | instid1(VALU_DEP_1)
	v_dual_lshrrev_b32 v12, 16, v0 :: v_dual_bitop2_b32 v10, 1, v6 bitop3:0x54
	v_cmp_gt_u64_e32 vcc_lo, s[6:7], v[10:11]
	s_wait_kmcnt 0x0
	v_lshl_add_u64 v[0:1], v[8:9], 1, s[2:3]
	s_delay_alu instid0(VALU_DEP_3)
	v_cndmask_b32_e64 v5, 0x7fc0, v12, s0
	global_store_b16 v[0:1], v5, off
	s_wait_xcnt 0x0
	s_and_b32 exec_lo, exec_lo, vcc_lo
	s_cbranch_execz .LBB7_24
; %bb.21:
	v_cvt_f32_ubyte0_e32 v4, v4
	s_delay_alu instid0(VALU_DEP_1) | instskip(NEXT) | instid1(VALU_DEP_1)
	v_dual_mov_b32 v5, v7 :: v_dual_mul_f32 v4, 0x3b800000, v4
	v_fma_f32 v8, s8, v4, s4
	s_delay_alu instid0(VALU_DEP_1) | instskip(SKIP_1) | instid1(VALU_DEP_2)
	v_bfe_u32 v4, v8, 16, 1
	v_cmp_o_f32_e64 s0, v8, v8
	v_add3_u32 v9, v8, v4, 0x7fff
	s_delay_alu instid0(VALU_DEP_1) | instskip(NEXT) | instid1(VALU_DEP_1)
	v_dual_lshrrev_b32 v9, 16, v9 :: v_dual_bitop2_b32 v4, 2, v6 bitop3:0x54
	v_cmp_gt_u64_e32 vcc_lo, s[6:7], v[4:5]
	s_delay_alu instid0(VALU_DEP_2)
	v_cndmask_b32_e64 v4, 0x7fc0, v9, s0
	global_store_b16 v[0:1], v4, off offset:2
	s_wait_xcnt 0x0
	s_and_b32 exec_lo, exec_lo, vcc_lo
	s_cbranch_execz .LBB7_24
; %bb.22:
	v_cvt_f32_ubyte0_e32 v3, v3
	v_or_b32_e32 v6, 3, v6
	s_delay_alu instid0(VALU_DEP_2) | instskip(NEXT) | instid1(VALU_DEP_2)
	v_mul_f32_e32 v3, 0x3b800000, v3
	v_cmp_gt_u64_e32 vcc_lo, s[6:7], v[6:7]
	s_delay_alu instid0(VALU_DEP_2) | instskip(NEXT) | instid1(VALU_DEP_1)
	v_fma_f32 v3, s8, v3, s4
	v_bfe_u32 v4, v3, 16, 1
	v_cmp_o_f32_e64 s0, v3, v3
	s_delay_alu instid0(VALU_DEP_2) | instskip(NEXT) | instid1(VALU_DEP_1)
	v_add3_u32 v4, v3, v4, 0x7fff
	v_lshrrev_b32_e32 v4, 16, v4
	s_delay_alu instid0(VALU_DEP_1)
	v_cndmask_b32_e64 v3, 0x7fc0, v4, s0
	global_store_b16 v[0:1], v3, off offset:4
	s_wait_xcnt 0x0
	s_and_b32 exec_lo, exec_lo, vcc_lo
	s_cbranch_execz .LBB7_24
; %bb.23:
	v_cvt_f32_ubyte0_e32 v2, v2
	s_delay_alu instid0(VALU_DEP_1) | instskip(NEXT) | instid1(VALU_DEP_1)
	v_mul_f32_e32 v2, 0x3b800000, v2
	v_fma_f32 v2, s8, v2, s4
	s_delay_alu instid0(VALU_DEP_1) | instskip(SKIP_1) | instid1(VALU_DEP_2)
	v_bfe_u32 v3, v2, 16, 1
	v_cmp_o_f32_e32 vcc_lo, v2, v2
	v_add3_u32 v3, v2, v3, 0x7fff
	s_delay_alu instid0(VALU_DEP_1) | instskip(NEXT) | instid1(VALU_DEP_1)
	v_lshrrev_b32_e32 v3, 16, v3
	v_cndmask_b32_e32 v2, 0x7fc0, v3, vcc_lo
	global_store_b16 v[0:1], v2, off offset:6
.LBB7_24:
	s_wait_xcnt 0x0
	s_or_b32 exec_lo, exec_lo, s5
                                        ; implicit-def: $vgpr0
                                        ; implicit-def: $vgpr4
                                        ; implicit-def: $vgpr3
                                        ; implicit-def: $vgpr2
                                        ; implicit-def: $vgpr8_vgpr9
.LBB7_25:
	s_and_not1_saveexec_b32 s0, s1
	s_cbranch_execz .LBB7_27
; %bb.26:
	v_cvt_f32_ubyte0_e32 v3, v3
	s_delay_alu instid0(VALU_DEP_4) | instskip(SKIP_3) | instid1(VALU_DEP_3)
	v_cvt_f32_ubyte0_e32 v2, v2
	s_mov_b32 s0, 0x3b800000
	v_cvt_f32_ubyte0_e32 v1, v0
	v_cvt_f32_ubyte0_e32 v0, v4
	v_pk_mul_f32 v[2:3], v[2:3], s[0:1] op_sel_hi:[1,0]
	s_delay_alu instid0(VALU_DEP_2) | instskip(NEXT) | instid1(VALU_DEP_2)
	v_pk_mul_f32 v[0:1], v[0:1], s[0:1] op_sel_hi:[1,0]
	v_pk_fma_f32 v[2:3], s[8:9], v[2:3], s[4:5] op_sel_hi:[0,1,0]
	s_delay_alu instid0(VALU_DEP_2) | instskip(NEXT) | instid1(VALU_DEP_2)
	v_pk_fma_f32 v[0:1], s[8:9], v[0:1], s[4:5] op_sel_hi:[0,1,0]
	v_bfe_u32 v4, v2, 16, 1
	s_delay_alu instid0(VALU_DEP_3) | instskip(SKIP_1) | instid1(VALU_DEP_4)
	v_bfe_u32 v5, v3, 16, 1
	v_cmp_o_f32_e32 vcc_lo, v2, v2
	v_bfe_u32 v6, v0, 16, 1
	v_bfe_u32 v7, v1, 16, 1
	v_add3_u32 v4, v2, v4, 0x7fff
	v_add3_u32 v5, v3, v5, 0x7fff
	s_delay_alu instid0(VALU_DEP_4) | instskip(NEXT) | instid1(VALU_DEP_4)
	v_add3_u32 v6, v0, v6, 0x7fff
	v_add3_u32 v7, v1, v7, 0x7fff
	s_delay_alu instid0(VALU_DEP_4) | instskip(NEXT) | instid1(VALU_DEP_4)
	v_and_b32_e32 v4, 0xffff0000, v4
	v_lshrrev_b32_e32 v5, 16, v5
	s_delay_alu instid0(VALU_DEP_4) | instskip(NEXT) | instid1(VALU_DEP_3)
	v_and_b32_e32 v6, 0xffff0000, v6
	v_cndmask_b32_e32 v2, 0x7fc00000, v4, vcc_lo
	v_cmp_o_f32_e32 vcc_lo, v3, v3
	s_delay_alu instid0(VALU_DEP_4) | instskip(SKIP_1) | instid1(VALU_DEP_2)
	v_dual_cndmask_b32 v3, 0x7fc0, v5 :: v_dual_lshrrev_b32 v4, 16, v7
	v_cmp_o_f32_e32 vcc_lo, v0, v0
	v_or_b32_e32 v2, v2, v3
	v_cndmask_b32_e32 v5, 0x7fc00000, v6, vcc_lo
	v_cmp_o_f32_e32 vcc_lo, v1, v1
	s_wait_kmcnt 0x0
	v_lshl_add_u64 v[0:1], v[8:9], 1, s[2:3]
	v_or3_b32 v3, v2, 0, 0
	v_cndmask_b32_e32 v4, 0x7fc0, v4, vcc_lo
	s_delay_alu instid0(VALU_DEP_1)
	v_or3_b32 v2, 0, v5, v4
	global_store_b64 v[0:1], v[2:3], off
.LBB7_27:
	s_endpgm
	.section	.rodata,"a",@progbits
	.p2align	6, 0x0
	.amdhsa_kernel _ZN2at6native12_GLOBAL__N_123philox_multi_key_kernelIN3c108BFloat16EZZZZNS0_21_philox_uniform_cuda_ERNS_6TensorERKS5_ddENKUlvE_clEvENKUlvE2_clEvENKUlvE_clEvEUlmmE0_ZZZNS0_21_philox_uniform_cuda_ES6_S8_ddENKS9_clEvENKSA_clEvEUlT_E_EEvPSD_PKmllT0_T1_16OffsetCalculatorILi1EjLb0EE
		.amdhsa_group_segment_fixed_size 0
		.amdhsa_private_segment_fixed_size 0
		.amdhsa_kernarg_size 560
		.amdhsa_user_sgpr_count 2
		.amdhsa_user_sgpr_dispatch_ptr 0
		.amdhsa_user_sgpr_queue_ptr 0
		.amdhsa_user_sgpr_kernarg_segment_ptr 1
		.amdhsa_user_sgpr_dispatch_id 0
		.amdhsa_user_sgpr_kernarg_preload_length 0
		.amdhsa_user_sgpr_kernarg_preload_offset 0
		.amdhsa_user_sgpr_private_segment_size 0
		.amdhsa_wavefront_size32 1
		.amdhsa_uses_dynamic_stack 0
		.amdhsa_enable_private_segment 0
		.amdhsa_system_sgpr_workgroup_id_x 1
		.amdhsa_system_sgpr_workgroup_id_y 0
		.amdhsa_system_sgpr_workgroup_id_z 0
		.amdhsa_system_sgpr_workgroup_info 0
		.amdhsa_system_vgpr_workitem_id 0
		.amdhsa_next_free_vgpr 18
		.amdhsa_next_free_sgpr 40
		.amdhsa_named_barrier_count 0
		.amdhsa_reserve_vcc 1
		.amdhsa_float_round_mode_32 0
		.amdhsa_float_round_mode_16_64 0
		.amdhsa_float_denorm_mode_32 3
		.amdhsa_float_denorm_mode_16_64 3
		.amdhsa_fp16_overflow 0
		.amdhsa_memory_ordered 1
		.amdhsa_forward_progress 1
		.amdhsa_inst_pref_size 27
		.amdhsa_round_robin_scheduling 0
		.amdhsa_exception_fp_ieee_invalid_op 0
		.amdhsa_exception_fp_denorm_src 0
		.amdhsa_exception_fp_ieee_div_zero 0
		.amdhsa_exception_fp_ieee_overflow 0
		.amdhsa_exception_fp_ieee_underflow 0
		.amdhsa_exception_fp_ieee_inexact 0
		.amdhsa_exception_int_div_zero 0
	.end_amdhsa_kernel
	.section	.text._ZN2at6native12_GLOBAL__N_123philox_multi_key_kernelIN3c108BFloat16EZZZZNS0_21_philox_uniform_cuda_ERNS_6TensorERKS5_ddENKUlvE_clEvENKUlvE2_clEvENKUlvE_clEvEUlmmE0_ZZZNS0_21_philox_uniform_cuda_ES6_S8_ddENKS9_clEvENKSA_clEvEUlT_E_EEvPSD_PKmllT0_T1_16OffsetCalculatorILi1EjLb0EE,"axG",@progbits,_ZN2at6native12_GLOBAL__N_123philox_multi_key_kernelIN3c108BFloat16EZZZZNS0_21_philox_uniform_cuda_ERNS_6TensorERKS5_ddENKUlvE_clEvENKUlvE2_clEvENKUlvE_clEvEUlmmE0_ZZZNS0_21_philox_uniform_cuda_ES6_S8_ddENKS9_clEvENKSA_clEvEUlT_E_EEvPSD_PKmllT0_T1_16OffsetCalculatorILi1EjLb0EE,comdat
.Lfunc_end7:
	.size	_ZN2at6native12_GLOBAL__N_123philox_multi_key_kernelIN3c108BFloat16EZZZZNS0_21_philox_uniform_cuda_ERNS_6TensorERKS5_ddENKUlvE_clEvENKUlvE2_clEvENKUlvE_clEvEUlmmE0_ZZZNS0_21_philox_uniform_cuda_ES6_S8_ddENKS9_clEvENKSA_clEvEUlT_E_EEvPSD_PKmllT0_T1_16OffsetCalculatorILi1EjLb0EE, .Lfunc_end7-_ZN2at6native12_GLOBAL__N_123philox_multi_key_kernelIN3c108BFloat16EZZZZNS0_21_philox_uniform_cuda_ERNS_6TensorERKS5_ddENKUlvE_clEvENKUlvE2_clEvENKUlvE_clEvEUlmmE0_ZZZNS0_21_philox_uniform_cuda_ES6_S8_ddENKS9_clEvENKSA_clEvEUlT_E_EEvPSD_PKmllT0_T1_16OffsetCalculatorILi1EjLb0EE
                                        ; -- End function
	.set _ZN2at6native12_GLOBAL__N_123philox_multi_key_kernelIN3c108BFloat16EZZZZNS0_21_philox_uniform_cuda_ERNS_6TensorERKS5_ddENKUlvE_clEvENKUlvE2_clEvENKUlvE_clEvEUlmmE0_ZZZNS0_21_philox_uniform_cuda_ES6_S8_ddENKS9_clEvENKSA_clEvEUlT_E_EEvPSD_PKmllT0_T1_16OffsetCalculatorILi1EjLb0EE.num_vgpr, 18
	.set _ZN2at6native12_GLOBAL__N_123philox_multi_key_kernelIN3c108BFloat16EZZZZNS0_21_philox_uniform_cuda_ERNS_6TensorERKS5_ddENKUlvE_clEvENKUlvE2_clEvENKUlvE_clEvEUlmmE0_ZZZNS0_21_philox_uniform_cuda_ES6_S8_ddENKS9_clEvENKSA_clEvEUlT_E_EEvPSD_PKmllT0_T1_16OffsetCalculatorILi1EjLb0EE.num_agpr, 0
	.set _ZN2at6native12_GLOBAL__N_123philox_multi_key_kernelIN3c108BFloat16EZZZZNS0_21_philox_uniform_cuda_ERNS_6TensorERKS5_ddENKUlvE_clEvENKUlvE2_clEvENKUlvE_clEvEUlmmE0_ZZZNS0_21_philox_uniform_cuda_ES6_S8_ddENKS9_clEvENKSA_clEvEUlT_E_EEvPSD_PKmllT0_T1_16OffsetCalculatorILi1EjLb0EE.numbered_sgpr, 40
	.set _ZN2at6native12_GLOBAL__N_123philox_multi_key_kernelIN3c108BFloat16EZZZZNS0_21_philox_uniform_cuda_ERNS_6TensorERKS5_ddENKUlvE_clEvENKUlvE2_clEvENKUlvE_clEvEUlmmE0_ZZZNS0_21_philox_uniform_cuda_ES6_S8_ddENKS9_clEvENKSA_clEvEUlT_E_EEvPSD_PKmllT0_T1_16OffsetCalculatorILi1EjLb0EE.num_named_barrier, 0
	.set _ZN2at6native12_GLOBAL__N_123philox_multi_key_kernelIN3c108BFloat16EZZZZNS0_21_philox_uniform_cuda_ERNS_6TensorERKS5_ddENKUlvE_clEvENKUlvE2_clEvENKUlvE_clEvEUlmmE0_ZZZNS0_21_philox_uniform_cuda_ES6_S8_ddENKS9_clEvENKSA_clEvEUlT_E_EEvPSD_PKmllT0_T1_16OffsetCalculatorILi1EjLb0EE.private_seg_size, 0
	.set _ZN2at6native12_GLOBAL__N_123philox_multi_key_kernelIN3c108BFloat16EZZZZNS0_21_philox_uniform_cuda_ERNS_6TensorERKS5_ddENKUlvE_clEvENKUlvE2_clEvENKUlvE_clEvEUlmmE0_ZZZNS0_21_philox_uniform_cuda_ES6_S8_ddENKS9_clEvENKSA_clEvEUlT_E_EEvPSD_PKmllT0_T1_16OffsetCalculatorILi1EjLb0EE.uses_vcc, 1
	.set _ZN2at6native12_GLOBAL__N_123philox_multi_key_kernelIN3c108BFloat16EZZZZNS0_21_philox_uniform_cuda_ERNS_6TensorERKS5_ddENKUlvE_clEvENKUlvE2_clEvENKUlvE_clEvEUlmmE0_ZZZNS0_21_philox_uniform_cuda_ES6_S8_ddENKS9_clEvENKSA_clEvEUlT_E_EEvPSD_PKmllT0_T1_16OffsetCalculatorILi1EjLb0EE.uses_flat_scratch, 0
	.set _ZN2at6native12_GLOBAL__N_123philox_multi_key_kernelIN3c108BFloat16EZZZZNS0_21_philox_uniform_cuda_ERNS_6TensorERKS5_ddENKUlvE_clEvENKUlvE2_clEvENKUlvE_clEvEUlmmE0_ZZZNS0_21_philox_uniform_cuda_ES6_S8_ddENKS9_clEvENKSA_clEvEUlT_E_EEvPSD_PKmllT0_T1_16OffsetCalculatorILi1EjLb0EE.has_dyn_sized_stack, 0
	.set _ZN2at6native12_GLOBAL__N_123philox_multi_key_kernelIN3c108BFloat16EZZZZNS0_21_philox_uniform_cuda_ERNS_6TensorERKS5_ddENKUlvE_clEvENKUlvE2_clEvENKUlvE_clEvEUlmmE0_ZZZNS0_21_philox_uniform_cuda_ES6_S8_ddENKS9_clEvENKSA_clEvEUlT_E_EEvPSD_PKmllT0_T1_16OffsetCalculatorILi1EjLb0EE.has_recursion, 0
	.set _ZN2at6native12_GLOBAL__N_123philox_multi_key_kernelIN3c108BFloat16EZZZZNS0_21_philox_uniform_cuda_ERNS_6TensorERKS5_ddENKUlvE_clEvENKUlvE2_clEvENKUlvE_clEvEUlmmE0_ZZZNS0_21_philox_uniform_cuda_ES6_S8_ddENKS9_clEvENKSA_clEvEUlT_E_EEvPSD_PKmllT0_T1_16OffsetCalculatorILi1EjLb0EE.has_indirect_call, 0
	.section	.AMDGPU.csdata,"",@progbits
; Kernel info:
; codeLenInByte = 3420
; TotalNumSgprs: 42
; NumVgprs: 18
; ScratchSize: 0
; MemoryBound: 0
; FloatMode: 240
; IeeeMode: 1
; LDSByteSize: 0 bytes/workgroup (compile time only)
; SGPRBlocks: 0
; VGPRBlocks: 1
; NumSGPRsForWavesPerEU: 42
; NumVGPRsForWavesPerEU: 18
; NamedBarCnt: 0
; Occupancy: 16
; WaveLimiterHint : 1
; COMPUTE_PGM_RSRC2:SCRATCH_EN: 0
; COMPUTE_PGM_RSRC2:USER_SGPR: 2
; COMPUTE_PGM_RSRC2:TRAP_HANDLER: 0
; COMPUTE_PGM_RSRC2:TGID_X_EN: 1
; COMPUTE_PGM_RSRC2:TGID_Y_EN: 0
; COMPUTE_PGM_RSRC2:TGID_Z_EN: 0
; COMPUTE_PGM_RSRC2:TIDIG_COMP_CNT: 0
	.section	.text._ZN2at6native12_GLOBAL__N_124philox_single_key_kernelIdZZZZNS0_20_philox_normal_cuda_ERNS_6TensorERKS3_ddENKUlvE_clEvENKUlvE_clEvENKUlvE_clEvEUlmmE_ZZZNS0_20_philox_normal_cuda_ES4_S6_ddENKS7_clEvENKS8_clEvEUldE_EEvPT_PKmlT0_T1_,"axG",@progbits,_ZN2at6native12_GLOBAL__N_124philox_single_key_kernelIdZZZZNS0_20_philox_normal_cuda_ERNS_6TensorERKS3_ddENKUlvE_clEvENKUlvE_clEvENKUlvE_clEvEUlmmE_ZZZNS0_20_philox_normal_cuda_ES4_S6_ddENKS7_clEvENKS8_clEvEUldE_EEvPT_PKmlT0_T1_,comdat
	.globl	_ZN2at6native12_GLOBAL__N_124philox_single_key_kernelIdZZZZNS0_20_philox_normal_cuda_ERNS_6TensorERKS3_ddENKUlvE_clEvENKUlvE_clEvENKUlvE_clEvEUlmmE_ZZZNS0_20_philox_normal_cuda_ES4_S6_ddENKS7_clEvENKS8_clEvEUldE_EEvPT_PKmlT0_T1_ ; -- Begin function _ZN2at6native12_GLOBAL__N_124philox_single_key_kernelIdZZZZNS0_20_philox_normal_cuda_ERNS_6TensorERKS3_ddENKUlvE_clEvENKUlvE_clEvENKUlvE_clEvEUlmmE_ZZZNS0_20_philox_normal_cuda_ES4_S6_ddENKS7_clEvENKS8_clEvEUldE_EEvPT_PKmlT0_T1_
	.p2align	8
	.type	_ZN2at6native12_GLOBAL__N_124philox_single_key_kernelIdZZZZNS0_20_philox_normal_cuda_ERNS_6TensorERKS3_ddENKUlvE_clEvENKUlvE_clEvENKUlvE_clEvEUlmmE_ZZZNS0_20_philox_normal_cuda_ES4_S6_ddENKS7_clEvENKS8_clEvEUldE_EEvPT_PKmlT0_T1_,@function
_ZN2at6native12_GLOBAL__N_124philox_single_key_kernelIdZZZZNS0_20_philox_normal_cuda_ERNS_6TensorERKS3_ddENKUlvE_clEvENKUlvE_clEvENKUlvE_clEvEUlmmE_ZZZNS0_20_philox_normal_cuda_ES4_S6_ddENKS7_clEvENKS8_clEvEUldE_EEvPT_PKmlT0_T1_: ; @_ZN2at6native12_GLOBAL__N_124philox_single_key_kernelIdZZZZNS0_20_philox_normal_cuda_ERNS_6TensorERKS3_ddENKUlvE_clEvENKUlvE_clEvENKUlvE_clEvEUlmmE_ZZZNS0_20_philox_normal_cuda_ES4_S6_ddENKS7_clEvENKS8_clEvEUldE_EEvPT_PKmlT0_T1_
; %bb.0:
	s_clause 0x3
	s_load_b64 s[16:17], s[2:3], 0x10
	s_load_b32 s12, s[2:3], 0x3c
	s_load_b128 s[8:11], s[2:3], 0x0
	s_load_b128 s[4:7], s[2:3], 0x20
	s_wait_xcnt 0x0
	s_bfe_u32 s2, ttmp6, 0x4000c
	s_mov_b32 s3, 0
	s_add_co_i32 s2, s2, 1
	s_and_b32 s13, ttmp6, 15
	s_mul_i32 s15, ttmp9, s2
	s_getreg_b32 s14, hwreg(HW_REG_IB_STS2, 6, 4)
	v_mov_b32_e32 v7, 0
	v_and_b32_e32 v2, 0x3ff, v0
	s_delay_alu instid0(VALU_DEP_2) | instskip(SKIP_4) | instid1(SALU_CYCLE_1)
	v_mov_b32_e32 v3, v7
	s_wait_kmcnt 0x0
	s_lshr_b32 s2, s17, 31
	s_and_b32 s20, s12, 0xffff
	s_add_nc_u64 s[2:3], s[16:17], s[2:3]
	s_ashr_i64 s[18:19], s[2:3], 1
	s_add_co_i32 s2, s13, s15
	s_cmp_eq_u32 s14, 0
	s_load_b128 s[12:15], s[10:11], 0x0
	s_cselect_b32 s2, ttmp9, s2
	s_wait_xcnt 0x0
	s_mov_b32 s10, exec_lo
	v_mad_nc_u64_u32 v[4:5], s20, s2, v[2:3]
	s_delay_alu instid0(VALU_DEP_1)
	v_cmpx_gt_i64_e64 s[18:19], v[4:5]
	s_cbranch_execz .LBB8_6
; %bb.1:
	s_wait_kmcnt 0x0
	v_add_nc_u64_e32 v[8:9], s[14:15], v[4:5]
	s_mov_b64 s[2:3], 0xd2511f53
	s_delay_alu instid0(VALU_DEP_1) | instskip(NEXT) | instid1(VALU_DEP_2)
	v_dual_mov_b32 v13, v7 :: v_dual_mov_b32 v6, v8
	v_xor_b32_e32 v12, s12, v9
	v_mul_lo_u32 v1, 0xd2511f53, v8
	s_delay_alu instid0(VALU_DEP_3) | instskip(NEXT) | instid1(VALU_DEP_3)
	v_mul_u64_e32 v[10:11], s[2:3], v[6:7]
	v_mul_u64_e32 v[14:15], s[2:3], v[12:13]
	s_mov_b64 s[2:3], 0xcd9e8d57
	s_delay_alu instid0(VALU_DEP_2) | instskip(NEXT) | instid1(VALU_DEP_1)
	v_xor_b32_e32 v6, s13, v11
	v_mul_u64_e32 v[10:11], s[2:3], v[6:7]
	s_add_co_i32 s2, s13, 0xbb67ae85
	v_mul_lo_u32 v3, 0xcd9e8d57, v6
	s_delay_alu instid0(VALU_DEP_4) | instskip(SKIP_2) | instid1(VALU_DEP_1)
	v_xor3_b32 v1, v1, s2, v15
	s_add_co_i32 s2, s12, 0x9e3779b9
	s_add_co_i32 s3, s12, 0x3c6ef372
	v_mul_hi_u32 v6, 0xcd9e8d57, v1
	v_mul_lo_u32 v1, 0xcd9e8d57, v1
	s_delay_alu instid0(VALU_DEP_2) | instskip(SKIP_2) | instid1(VALU_DEP_2)
	v_xor3_b32 v3, v3, s3, v6
	v_mul_lo_u32 v6, 0xd2511f53, v12
	s_add_co_i32 s3, s13, 0x32370b8f
	v_mul_hi_u32 v9, 0xd2511f53, v3
	v_mul_lo_u32 v3, 0xd2511f53, v3
	v_xor_b32_e32 v7, s2, v11
	s_add_co_i32 s2, s13, 0x76cf5d0a
	s_delay_alu instid0(VALU_DEP_1) | instskip(SKIP_1) | instid1(VALU_DEP_2)
	v_mul_hi_u32 v8, 0xd2511f53, v7
	v_mul_lo_u32 v7, 0xd2511f53, v7
	v_xor3_b32 v6, v6, s2, v8
	s_delay_alu instid0(VALU_DEP_2) | instskip(SKIP_2) | instid1(VALU_DEP_2)
	v_xor3_b32 v7, v7, s3, v9
	s_add_co_i32 s2, s12, 0xdaa66d2b
	s_add_co_i32 s3, s12, 0x78dde6e4
	v_mul_hi_u32 v8, 0xcd9e8d57, v6
	v_mul_lo_u32 v6, 0xcd9e8d57, v6
	v_mul_hi_u32 v9, 0xcd9e8d57, v7
	v_mul_lo_u32 v7, 0xcd9e8d57, v7
	s_delay_alu instid0(VALU_DEP_4) | instskip(SKIP_1) | instid1(VALU_DEP_3)
	v_xor3_b32 v1, v1, s2, v8
	s_add_co_i32 s2, s13, 0xed9eba14
	v_xor3_b32 v6, v6, s3, v9
	s_add_co_i32 s3, s13, 0xa9066899
	s_delay_alu instid0(VALU_DEP_2) | instskip(SKIP_1) | instid1(VALU_DEP_3)
	v_mul_hi_u32 v8, 0xd2511f53, v1
	v_mul_lo_u32 v1, 0xd2511f53, v1
	v_mul_hi_u32 v9, 0xd2511f53, v6
	v_mul_lo_u32 v6, 0xd2511f53, v6
	s_delay_alu instid0(VALU_DEP_4) | instskip(SKIP_1) | instid1(VALU_DEP_3)
	v_xor3_b32 v3, v3, s2, v8
	s_add_co_i32 s2, s12, 0x1715609d
	v_xor3_b32 v1, v1, s3, v9
	s_add_co_i32 s3, s12, 0xb54cda56
	s_delay_alu instid0(VALU_DEP_2) | instskip(SKIP_1) | instid1(VALU_DEP_3)
	;; [unrolled: 10-line block ×3, first 2 shown]
	v_mul_lo_u32 v8, 0xd2511f53, v7
	v_mul_hi_u32 v7, 0xd2511f53, v7
	v_mul_hi_u32 v9, 0xd2511f53, v3
	s_delay_alu instid0(VALU_DEP_2) | instskip(NEXT) | instid1(VALU_DEP_2)
	v_xor3_b32 v10, v6, s2, v7
	v_xor3_b32 v12, v8, s3, v9
	s_add_co_i32 s2, s12, 0xf1bbcdc8
	s_delay_alu instid0(VALU_DEP_2) | instskip(NEXT) | instid1(VALU_DEP_2)
	v_mul_lo_u32 v6, 0xcd9e8d57, v10
	v_mul_hi_u32 v7, 0xcd9e8d57, v12
	v_mul_hi_u32 v9, 0xcd9e8d57, v10
                                        ; implicit-def: $vgpr10_vgpr11
	s_delay_alu instid0(VALU_DEP_2)
	v_xor3_b32 v8, v6, s2, v7
	s_add_co_i32 s2, s12, 0x5384540f
	s_delay_alu instid0(VALU_DEP_2) | instid1(SALU_CYCLE_1)
	v_xor3_b32 v13, v1, s2, v9
	s_add_co_i32 s2, s13, 0x96a522ad
	s_delay_alu instid0(VALU_DEP_2) | instskip(SKIP_1) | instid1(VALU_DEP_3)
	v_mul_lo_u32 v6, 0xd2511f53, v8
	v_mul_hi_u32 v8, 0xd2511f53, v8
	v_mul_lo_u32 v1, 0xd2511f53, v13
	s_delay_alu instid0(VALU_DEP_3) | instskip(NEXT) | instid1(VALU_DEP_2)
	v_cvt_f64_u32_e32 v[6:7], v6
	v_xor3_b32 v1, v1, s2, v8
	s_mov_b64 s[2:3], 0x3df0000000000000
	s_delay_alu instid0(VALU_DEP_1) | instskip(NEXT) | instid1(VALU_DEP_3)
	v_cvt_f64_u32_e32 v[8:9], v1
                                        ; implicit-def: $vgpr1
	v_ldexp_f64 v[6:7], v[6:7], 0xffffffe0
	s_delay_alu instid0(VALU_DEP_1) | instskip(NEXT) | instid1(VALU_DEP_1)
	v_fmaak_f64 v[6:7], s[2:3], v[6:7], 0x3be00000
	v_fmac_f64_e32 v[6:7], 0x3df00000, v[8:9]
                                        ; implicit-def: $vgpr8_vgpr9
	s_delay_alu instid0(VALU_DEP_1) | instskip(NEXT) | instid1(VALU_DEP_1)
	v_mul_f64_e32 v[6:7], 0x401921fb54442d18, v[6:7]
	v_cmp_ngt_f64_e64 s2, 0x41d00000, |v[6:7]|
	s_and_saveexec_b32 s3, s2
	s_delay_alu instid0(SALU_CYCLE_1)
	s_xor_b32 s2, exec_lo, s3
	s_cbranch_execz .LBB8_3
; %bb.2:
	v_ldexp_f64 v[8:9], |v[6:7]|, 0xffffff80
	v_cmp_le_f64_e64 vcc_lo, 0x7b000000, |v[6:7]|
	v_trig_preop_f64 v[10:11], |v[6:7]|, 0
	v_and_b32_e32 v1, 0x7fffffff, v7
	v_trig_preop_f64 v[14:15], |v[6:7]|, 1
	v_trig_preop_f64 v[24:25], |v[6:7]|, 2
	s_mov_b64 s[20:21], 0x3ff921fb54442d18
	s_delay_alu instid0(VALU_DEP_3) | instskip(SKIP_1) | instid1(VALU_DEP_1)
	v_dual_mov_b32 v32, 0 :: v_dual_cndmask_b32 v9, v1, v9
	v_cndmask_b32_e32 v8, v6, v8, vcc_lo
	v_mul_f64_e32 v[16:17], v[10:11], v[8:9]
	v_mul_f64_e32 v[18:19], v[14:15], v[8:9]
	;; [unrolled: 1-line block ×3, first 2 shown]
	s_delay_alu instid0(VALU_DEP_3) | instskip(NEXT) | instid1(VALU_DEP_3)
	v_fma_f64 v[10:11], v[10:11], v[8:9], -v[16:17]
	v_fma_f64 v[14:15], v[14:15], v[8:9], -v[18:19]
	s_delay_alu instid0(VALU_DEP_3) | instskip(NEXT) | instid1(VALU_DEP_3)
	v_fma_f64 v[8:9], v[24:25], v[8:9], -v[30:31]
	v_add_f64_e32 v[20:21], v[18:19], v[10:11]
	s_delay_alu instid0(VALU_DEP_1) | instskip(SKIP_1) | instid1(VALU_DEP_2)
	v_add_f64_e64 v[22:23], v[20:21], -v[18:19]
	v_add_f64_e32 v[28:29], v[16:17], v[20:21]
	v_add_f64_e64 v[26:27], v[20:21], -v[22:23]
	v_add_f64_e64 v[10:11], v[10:11], -v[22:23]
	s_delay_alu instid0(VALU_DEP_3) | instskip(NEXT) | instid1(VALU_DEP_3)
	v_ldexp_f64 v[22:23], v[28:29], -2
	v_add_f64_e64 v[18:19], v[18:19], -v[26:27]
	v_add_f64_e32 v[26:27], v[30:31], v[14:15]
	s_delay_alu instid0(VALU_DEP_3) | instskip(NEXT) | instid1(VALU_DEP_3)
	v_cmp_neq_f64_e64 vcc_lo, 0x7ff00000, |v[22:23]|
	v_add_f64_e32 v[10:11], v[10:11], v[18:19]
	v_fract_f64_e32 v[18:19], v[22:23]
	s_delay_alu instid0(VALU_DEP_1) | instskip(NEXT) | instid1(VALU_DEP_1)
	v_ldexp_f64 v[18:19], v[18:19], 2
	v_dual_add_f64 v[16:17], v[28:29], -v[16:17] :: v_dual_cndmask_b32 v19, 0, v19, vcc_lo
	s_delay_alu instid0(VALU_DEP_1) | instskip(SKIP_1) | instid1(VALU_DEP_1)
	v_dual_add_f64 v[16:17], v[20:21], -v[16:17] :: v_dual_cndmask_b32 v18, 0, v18, vcc_lo
	v_add_f64_e32 v[20:21], v[26:27], v[10:11]
	v_add_f64_e32 v[22:23], v[16:17], v[20:21]
	v_add_f64_e64 v[34:35], v[20:21], -v[26:27]
	s_delay_alu instid0(VALU_DEP_2) | instskip(NEXT) | instid1(VALU_DEP_2)
	v_add_f64_e32 v[28:29], v[22:23], v[18:19]
	v_add_f64_e64 v[40:41], v[20:21], -v[34:35]
	v_add_f64_e64 v[10:11], v[10:11], -v[34:35]
	;; [unrolled: 1-line block ×3, first 2 shown]
	s_delay_alu instid0(VALU_DEP_4) | instskip(SKIP_1) | instid1(VALU_DEP_3)
	v_cmp_gt_f64_e32 vcc_lo, 0, v[28:29]
	v_add_f64_e64 v[28:29], v[26:27], -v[30:31]
	v_add_f64_e64 v[16:17], v[20:21], -v[16:17]
	v_cndmask_b32_e64 v33, 0, 0x40100000, vcc_lo
	s_delay_alu instid0(VALU_DEP_3) | instskip(SKIP_2) | instid1(VALU_DEP_4)
	v_add_f64_e64 v[38:39], v[26:27], -v[28:29]
	v_add_f64_e64 v[14:15], v[14:15], -v[28:29]
	;; [unrolled: 1-line block ×3, first 2 shown]
	v_add_f64_e32 v[18:19], v[18:19], v[32:33]
	s_delay_alu instid0(VALU_DEP_4) | instskip(NEXT) | instid1(VALU_DEP_3)
	v_add_f64_e64 v[28:29], v[30:31], -v[38:39]
	v_add_f64_e32 v[10:11], v[10:11], v[26:27]
	s_delay_alu instid0(VALU_DEP_3) | instskip(NEXT) | instid1(VALU_DEP_3)
	v_add_f64_e32 v[36:37], v[22:23], v[18:19]
	v_add_f64_e32 v[14:15], v[14:15], v[28:29]
	s_delay_alu instid0(VALU_DEP_2) | instskip(NEXT) | instid1(VALU_DEP_2)
	v_cvt_i32_f64_e32 v1, v[36:37]
	v_add_f64_e32 v[10:11], v[14:15], v[10:11]
	s_delay_alu instid0(VALU_DEP_2) | instskip(NEXT) | instid1(VALU_DEP_2)
	v_cvt_f64_i32_e32 v[34:35], v1
	v_add_f64_e32 v[8:9], v[8:9], v[10:11]
	s_delay_alu instid0(VALU_DEP_2) | instskip(NEXT) | instid1(VALU_DEP_2)
	v_add_f64_e64 v[18:19], v[18:19], -v[34:35]
	v_add_f64_e32 v[8:9], v[16:17], v[8:9]
	s_delay_alu instid0(VALU_DEP_2) | instskip(NEXT) | instid1(VALU_DEP_1)
	v_add_f64_e32 v[14:15], v[22:23], v[18:19]
	v_add_f64_e64 v[10:11], v[14:15], -v[18:19]
	v_cmp_le_f64_e32 vcc_lo, 0.5, v[14:15]
	s_delay_alu instid0(VALU_DEP_2) | instskip(SKIP_2) | instid1(VALU_DEP_3)
	v_add_f64_e64 v[10:11], v[22:23], -v[10:11]
	v_cndmask_b32_e64 v33, 0, 0x3ff00000, vcc_lo
	v_add_co_ci_u32_e64 v1, null, 0, v1, vcc_lo
	v_add_f64_e32 v[8:9], v[8:9], v[10:11]
	s_delay_alu instid0(VALU_DEP_3) | instskip(NEXT) | instid1(VALU_DEP_1)
	v_add_f64_e64 v[10:11], v[14:15], -v[32:33]
	v_add_f64_e32 v[14:15], v[10:11], v[8:9]
	s_delay_alu instid0(VALU_DEP_1) | instskip(SKIP_1) | instid1(VALU_DEP_2)
	v_mul_f64_e32 v[16:17], 0x3ff921fb54442d18, v[14:15]
	v_add_f64_e64 v[10:11], v[14:15], -v[10:11]
	v_fma_f64 v[18:19], v[14:15], s[20:21], -v[16:17]
	s_delay_alu instid0(VALU_DEP_2) | instskip(NEXT) | instid1(VALU_DEP_2)
	v_add_f64_e64 v[8:9], v[8:9], -v[10:11]
	v_fmamk_f64 v[10:11], v[14:15], 0x3c91a62633145c07, v[18:19]
	s_delay_alu instid0(VALU_DEP_1) | instskip(NEXT) | instid1(VALU_DEP_1)
	v_fmac_f64_e32 v[10:11], 0x3ff921fb54442d18, v[8:9]
	v_add_f64_e32 v[8:9], v[16:17], v[10:11]
	s_delay_alu instid0(VALU_DEP_1) | instskip(NEXT) | instid1(VALU_DEP_1)
	v_add_f64_e64 v[14:15], v[8:9], -v[16:17]
	v_add_f64_e64 v[10:11], v[10:11], -v[14:15]
.LBB8_3:
	s_and_not1_saveexec_b32 s2, s2
	s_cbranch_execz .LBB8_5
; %bb.4:
	s_mov_b64 s[20:21], 0x3fe45f306dc9c883
	s_delay_alu instid0(SALU_CYCLE_1) | instskip(SKIP_1) | instid1(VALU_DEP_1)
	v_mul_f64_e64 v[8:9], |v[6:7]|, s[20:21]
	s_mov_b64 s[20:21], 0xbff921fb54442d18
	v_rndne_f64_e32 v[14:15], v[8:9]
	s_delay_alu instid0(VALU_DEP_1) | instskip(SKIP_2) | instid1(VALU_DEP_3)
	v_fma_f64 v[8:9], v[14:15], s[20:21], |v[6:7]|
	v_mul_f64_e32 v[10:11], 0xbc91a62633145c00, v[14:15]
	v_cvt_i32_f64_e32 v1, v[14:15]
	v_fmamk_f64 v[20:21], v[14:15], 0xbc91a62633145c00, v[8:9]
	s_delay_alu instid0(VALU_DEP_3) | instskip(NEXT) | instid1(VALU_DEP_1)
	v_add_f64_e32 v[16:17], v[8:9], v[10:11]
	v_add_f64_e64 v[18:19], v[8:9], -v[16:17]
	s_delay_alu instid0(VALU_DEP_3) | instskip(NEXT) | instid1(VALU_DEP_2)
	v_add_f64_e64 v[8:9], v[16:17], -v[20:21]
	v_add_f64_e32 v[16:17], v[18:19], v[10:11]
	v_fmamk_f64 v[10:11], v[14:15], 0x3c91a62633145c00, v[10:11]
	s_delay_alu instid0(VALU_DEP_2) | instskip(NEXT) | instid1(VALU_DEP_1)
	v_add_f64_e32 v[8:9], v[8:9], v[16:17]
	v_add_f64_e64 v[8:9], v[8:9], -v[10:11]
	s_delay_alu instid0(VALU_DEP_1) | instskip(NEXT) | instid1(VALU_DEP_1)
	v_fmamk_f64 v[10:11], v[14:15], 0xb97b839a252049c0, v[8:9]
	v_add_f64_e32 v[8:9], v[20:21], v[10:11]
	s_delay_alu instid0(VALU_DEP_1) | instskip(NEXT) | instid1(VALU_DEP_1)
	v_add_f64_e64 v[16:17], v[8:9], -v[20:21]
	v_add_f64_e64 v[10:11], v[10:11], -v[16:17]
.LBB8_5:
	s_or_b32 exec_lo, exec_lo, s2
	v_mul_lo_u32 v3, 0xd2511f53, v3
	v_mul_hi_u32 v13, 0xd2511f53, v13
	s_add_co_i32 s2, s13, 0xdb3d7428
	v_mul_lo_u32 v16, 0xcd9e8d57, v12
	s_delay_alu instid0(VALU_DEP_2) | instskip(SKIP_1) | instid1(VALU_DEP_1)
	v_xor3_b32 v3, v3, s2, v13
	s_add_co_i32 s2, s12, 0x8ff34781
	v_mul_lo_u32 v13, 0xcd9e8d57, v3
	v_mul_hi_u32 v3, 0xcd9e8d57, v3
	s_delay_alu instid0(VALU_DEP_2) | instskip(NEXT) | instid1(VALU_DEP_2)
	v_cvt_f64_u32_e32 v[14:15], v13
	v_xor3_b32 v3, v16, s2, v3
	s_mov_b64 s[2:3], 0x3df0000000000000
	s_delay_alu instid0(VALU_DEP_2) | instskip(NEXT) | instid1(VALU_DEP_2)
	v_ldexp_f64 v[12:13], v[14:15], 0xffffffe0
	v_cvt_f64_u32_e32 v[14:15], v3
	s_delay_alu instid0(VALU_DEP_2) | instskip(SKIP_1) | instid1(VALU_DEP_1)
	v_fmaak_f64 v[12:13], s[2:3], v[12:13], 0x3be00000
	s_mov_b64 s[2:3], 0x3fe5555555555555
	v_fmac_f64_e32 v[12:13], 0x3df00000, v[14:15]
	s_delay_alu instid0(VALU_DEP_1) | instskip(SKIP_1) | instid1(VALU_DEP_2)
	v_frexp_mant_f64_e32 v[14:15], v[12:13]
	v_frexp_exp_i32_f64_e32 v3, v[12:13]
	v_cmp_gt_f64_e32 vcc_lo, s[2:3], v[14:15]
	s_mov_b64 s[2:3], 0x3fc3ab76bf559e2b
	v_cndmask_b32_e64 v16, 0, 1, vcc_lo
	s_delay_alu instid0(VALU_DEP_3) | instskip(SKIP_1) | instid1(VALU_DEP_3)
	v_subrev_co_ci_u32_e64 v3, null, 0, v3, vcc_lo
	v_cmp_class_f64_e64 vcc_lo, v[12:13], 0x204
	v_ldexp_f64 v[14:15], v[14:15], v16
	s_delay_alu instid0(VALU_DEP_1) | instskip(SKIP_1) | instid1(VALU_DEP_2)
	v_add_f64_e32 v[16:17], 1.0, v[14:15]
	v_add_f64_e32 v[22:23], -1.0, v[14:15]
	v_rcp_f64_e32 v[18:19], v[16:17]
	v_add_f64_e32 v[24:25], -1.0, v[16:17]
	s_delay_alu instid0(VALU_DEP_1) | instskip(NEXT) | instid1(TRANS32_DEP_1)
	v_add_f64_e64 v[14:15], v[14:15], -v[24:25]
	v_fma_f64 v[20:21], -v[16:17], v[18:19], 1.0
	s_delay_alu instid0(VALU_DEP_1) | instskip(NEXT) | instid1(VALU_DEP_1)
	v_fmac_f64_e32 v[18:19], v[20:21], v[18:19]
	v_fma_f64 v[20:21], -v[16:17], v[18:19], 1.0
	s_delay_alu instid0(VALU_DEP_1) | instskip(NEXT) | instid1(VALU_DEP_1)
	v_fmac_f64_e32 v[18:19], v[20:21], v[18:19]
	v_mul_f64_e32 v[20:21], v[22:23], v[18:19]
	s_delay_alu instid0(VALU_DEP_1) | instskip(NEXT) | instid1(VALU_DEP_1)
	v_mul_f64_e32 v[26:27], v[16:17], v[20:21]
	v_fma_f64 v[16:17], v[20:21], v[16:17], -v[26:27]
	s_delay_alu instid0(VALU_DEP_1) | instskip(NEXT) | instid1(VALU_DEP_1)
	v_fmac_f64_e32 v[16:17], v[20:21], v[14:15]
	v_add_f64_e32 v[14:15], v[26:27], v[16:17]
	s_delay_alu instid0(VALU_DEP_1) | instskip(SKIP_1) | instid1(VALU_DEP_2)
	v_add_f64_e64 v[24:25], v[22:23], -v[14:15]
	v_add_f64_e64 v[26:27], v[14:15], -v[26:27]
	;; [unrolled: 1-line block ×3, first 2 shown]
	s_delay_alu instid0(VALU_DEP_2) | instskip(NEXT) | instid1(VALU_DEP_2)
	v_add_f64_e64 v[16:17], v[26:27], -v[16:17]
	v_add_f64_e64 v[14:15], v[22:23], -v[14:15]
	s_delay_alu instid0(VALU_DEP_1) | instskip(NEXT) | instid1(VALU_DEP_1)
	v_add_f64_e32 v[14:15], v[16:17], v[14:15]
	v_add_f64_e32 v[14:15], v[24:25], v[14:15]
	s_delay_alu instid0(VALU_DEP_1) | instskip(NEXT) | instid1(VALU_DEP_1)
	v_mul_f64_e32 v[14:15], v[18:19], v[14:15]
	v_add_f64_e32 v[16:17], v[20:21], v[14:15]
	s_delay_alu instid0(VALU_DEP_1) | instskip(NEXT) | instid1(VALU_DEP_1)
	v_mul_f64_e32 v[18:19], v[16:17], v[16:17]
	v_fmaak_f64 v[22:23], s[2:3], v[18:19], 0x3fc385386b47b09a
	v_mul_f64_e32 v[24:25], v[16:17], v[18:19]
	s_mov_b64 s[2:3], 0x3fe62e42fefa39ef
	s_delay_alu instid0(VALU_DEP_2) | instskip(NEXT) | instid1(VALU_DEP_1)
	v_fmaak_f64 v[22:23], v[18:19], v[22:23], 0x3fc7474dd7f4df2e
	v_fmaak_f64 v[22:23], v[18:19], v[22:23], 0x3fcc71c016291751
	s_delay_alu instid0(VALU_DEP_1) | instskip(NEXT) | instid1(VALU_DEP_1)
	v_fmaak_f64 v[22:23], v[18:19], v[22:23], 0x3fd249249b27acf1
	v_fmaak_f64 v[22:23], v[18:19], v[22:23], 0x3fd99999998ef7b6
	s_delay_alu instid0(VALU_DEP_1) | instskip(SKIP_2) | instid1(VALU_DEP_3)
	v_fmaak_f64 v[18:19], v[18:19], v[22:23], 0x3fe5555555555780
	v_ldexp_f64 v[22:23], v[16:17], 1
	v_add_f64_e64 v[16:17], v[16:17], -v[20:21]
	v_mul_f64_e32 v[18:19], v[24:25], v[18:19]
	v_cvt_f64_i32_e32 v[24:25], v3
	s_delay_alu instid0(VALU_DEP_3) | instskip(NEXT) | instid1(VALU_DEP_3)
	v_add_f64_e64 v[14:15], v[14:15], -v[16:17]
	v_add_f64_e32 v[20:21], v[22:23], v[18:19]
	s_delay_alu instid0(VALU_DEP_2) | instskip(NEXT) | instid1(VALU_DEP_2)
	v_ldexp_f64 v[14:15], v[14:15], 1
	v_add_f64_e64 v[16:17], v[20:21], -v[22:23]
	v_mul_f64_e32 v[22:23], 0x3fe62e42fefa39ef, v[24:25]
	s_delay_alu instid0(VALU_DEP_2) | instskip(NEXT) | instid1(VALU_DEP_2)
	v_add_f64_e64 v[16:17], v[18:19], -v[16:17]
	v_fma_f64 v[18:19], v[24:25], s[2:3], -v[22:23]
	s_mov_b64 s[2:3], 0x3de5e0b2f9a43bb8
	s_delay_alu instid0(VALU_DEP_2) | instskip(NEXT) | instid1(VALU_DEP_2)
	v_add_f64_e32 v[14:15], v[14:15], v[16:17]
	v_fmamk_f64 v[16:17], v[24:25], 0x3c7abc9e3b39803f, v[18:19]
	s_delay_alu instid0(VALU_DEP_1) | instskip(NEXT) | instid1(VALU_DEP_3)
	v_add_f64_e32 v[18:19], v[22:23], v[16:17]
	v_add_f64_e32 v[24:25], v[20:21], v[14:15]
	s_delay_alu instid0(VALU_DEP_2) | instskip(NEXT) | instid1(VALU_DEP_2)
	v_add_f64_e64 v[22:23], v[18:19], -v[22:23]
	v_add_f64_e32 v[26:27], v[18:19], v[24:25]
	v_add_f64_e64 v[20:21], v[24:25], -v[20:21]
	s_delay_alu instid0(VALU_DEP_3) | instskip(NEXT) | instid1(VALU_DEP_3)
	v_add_f64_e64 v[16:17], v[16:17], -v[22:23]
	v_add_f64_e64 v[28:29], v[26:27], -v[18:19]
	s_delay_alu instid0(VALU_DEP_3) | instskip(NEXT) | instid1(VALU_DEP_2)
	v_add_f64_e64 v[14:15], v[14:15], -v[20:21]
	v_add_f64_e64 v[30:31], v[26:27], -v[28:29]
	;; [unrolled: 1-line block ×3, first 2 shown]
	s_delay_alu instid0(VALU_DEP_3) | instskip(SKIP_1) | instid1(VALU_DEP_4)
	v_add_f64_e32 v[22:23], v[16:17], v[14:15]
	v_mul_f64_e32 v[28:29], 0.5, v[10:11]
	v_add_f64_e64 v[18:19], v[18:19], -v[30:31]
	s_delay_alu instid0(VALU_DEP_1) | instskip(NEXT) | instid1(VALU_DEP_4)
	v_add_f64_e32 v[18:19], v[20:21], v[18:19]
	v_add_f64_e64 v[20:21], v[22:23], -v[16:17]
	s_delay_alu instid0(VALU_DEP_2) | instskip(NEXT) | instid1(VALU_DEP_2)
	v_add_f64_e32 v[18:19], v[22:23], v[18:19]
	v_add_f64_e64 v[22:23], v[22:23], -v[20:21]
	v_add_f64_e64 v[14:15], v[14:15], -v[20:21]
	s_delay_alu instid0(VALU_DEP_3) | instskip(NEXT) | instid1(VALU_DEP_3)
	v_add_f64_e32 v[24:25], v[26:27], v[18:19]
	v_add_f64_e64 v[16:17], v[16:17], -v[22:23]
	s_delay_alu instid0(VALU_DEP_2) | instskip(NEXT) | instid1(VALU_DEP_2)
	v_add_f64_e64 v[20:21], v[24:25], -v[26:27]
	v_add_f64_e32 v[14:15], v[14:15], v[16:17]
	s_delay_alu instid0(VALU_DEP_2) | instskip(NEXT) | instid1(VALU_DEP_1)
	v_add_f64_e64 v[16:17], v[18:19], -v[20:21]
	v_add_f64_e32 v[14:15], v[14:15], v[16:17]
	v_mul_f64_e32 v[16:17], v[8:9], v[8:9]
	s_delay_alu instid0(VALU_DEP_2) | instskip(NEXT) | instid1(VALU_DEP_2)
	v_add_f64_e32 v[14:15], v[24:25], v[14:15]
	v_mul_f64_e32 v[18:19], 0.5, v[16:17]
	v_mul_f64_e64 v[30:31], v[8:9], -v[16:17]
	v_fmaak_f64 v[32:33], s[2:3], v[16:17], 0xbe5ae600b42fdfa7
	s_mov_b64 s[2:3], 0xbda907db46cc5e42
	s_delay_alu instid0(VALU_DEP_4) | instskip(SKIP_2) | instid1(VALU_DEP_3)
	v_dual_cndmask_b32 v15, v15, v13 :: v_dual_cndmask_b32 v14, v14, v12
	v_cmp_ngt_f64_e32 vcc_lo, 0, v[12:13]
	v_add_f64_e64 v[22:23], -v[18:19], 1.0
	v_mul_f64_e32 v[14:15], -2.0, v[14:15]
	s_delay_alu instid0(VALU_DEP_2) | instskip(NEXT) | instid1(VALU_DEP_2)
	v_add_f64_e64 v[26:27], -v[22:23], 1.0
	v_cndmask_b32_e32 v3, 0x7ff80000, v15, vcc_lo
	v_cmp_nge_f64_e32 vcc_lo, 0, v[12:13]
	s_delay_alu instid0(VALU_DEP_3) | instskip(SKIP_3) | instid1(VALU_DEP_3)
	v_add_f64_e64 v[18:19], v[26:27], -v[18:19]
	v_fmaak_f64 v[26:27], v[16:17], v[32:33], 0x3ec71de3796cde01
	v_dual_mul_f64 v[32:33], v[16:17], v[16:17] :: v_dual_cndmask_b32 v14, 0, v14, vcc_lo
	v_cmp_neq_f64_e32 vcc_lo, 0, v[12:13]
	v_fmaak_f64 v[26:27], v[16:17], v[26:27], 0xbf2a01a019e83e5c
	s_delay_alu instid0(VALU_DEP_1) | instskip(NEXT) | instid1(VALU_DEP_1)
	v_fmaak_f64 v[26:27], v[16:17], v[26:27], 0x3f81111111110bb3
	v_fmac_f64_e32 v[28:29], v[30:31], v[26:27]
	v_fmaak_f64 v[26:27], s[2:3], v[16:17], 0x3e21eeb69037ab78
	v_fma_f64 v[18:19], v[8:9], -v[10:11], v[18:19]
	v_cndmask_b32_e32 v15, 0x7ff00000, v3, vcc_lo
	s_delay_alu instid0(VALU_DEP_1) | instskip(SKIP_2) | instid1(VALU_DEP_1)
	v_cmp_gt_f64_e32 vcc_lo, 0x10000000, v[14:15]
	v_fma_f64 v[10:11], v[16:17], v[28:29], -v[10:11]
	v_cndmask_b32_e64 v3, 0, 0x100, vcc_lo
	v_ldexp_f64 v[12:13], v[14:15], v3
	v_dual_lshlrev_b32 v1, 30, v1 :: v_dual_bitop2_b32 v3, 1, v1 bitop3:0x40
	s_delay_alu instid0(VALU_DEP_1) | instskip(SKIP_4) | instid1(VALU_DEP_4)
	v_cmp_eq_u32_e64 s2, 0, v3
	v_fmamk_f64 v[10:11], v[30:31], 0xbfc5555555555555, v[10:11]
	v_cndmask_b32_e64 v3, 0, 0xffffff80, vcc_lo
	v_cmp_class_f64_e64 vcc_lo, v[6:7], 0x1f8
	v_xor_b32_e32 v6, v1, v7
	v_add_f64_e64 v[8:9], v[8:9], -v[10:11]
	v_rsq_f64_e32 v[14:15], v[12:13]
	v_cmp_class_f64_e64 s3, v[12:13], 0x260
	s_delay_alu instid0(TRANS32_DEP_1) | instskip(SKIP_1) | instid1(VALU_DEP_1)
	v_mul_f64_e32 v[20:21], v[12:13], v[14:15]
	v_mul_f64_e32 v[14:15], 0.5, v[14:15]
	v_fma_f64 v[24:25], -v[14:15], v[20:21], 0.5
	s_delay_alu instid0(VALU_DEP_1) | instskip(SKIP_1) | instid1(VALU_DEP_2)
	v_fmac_f64_e32 v[20:21], v[20:21], v[24:25]
	v_fmac_f64_e32 v[14:15], v[14:15], v[24:25]
	v_fma_f64 v[24:25], -v[20:21], v[20:21], v[12:13]
	s_delay_alu instid0(VALU_DEP_1) | instskip(SKIP_1) | instid1(VALU_DEP_1)
	v_fmac_f64_e32 v[20:21], v[24:25], v[14:15]
	v_fmaak_f64 v[24:25], v[16:17], v[26:27], 0xbe927e4fa17f65f6
	v_fmaak_f64 v[24:25], v[16:17], v[24:25], 0x3efa01a019f4ec90
	s_delay_alu instid0(VALU_DEP_1) | instskip(NEXT) | instid1(VALU_DEP_1)
	v_fmaak_f64 v[24:25], v[16:17], v[24:25], 0xbf56c16c16c16967
	v_fmaak_f64 v[16:17], v[16:17], v[24:25], 0x3fa5555555555555
	s_delay_alu instid0(VALU_DEP_1) | instskip(SKIP_1) | instid1(VALU_DEP_2)
	v_fmac_f64_e32 v[18:19], v[32:33], v[16:17]
	v_fma_f64 v[16:17], -v[20:21], v[20:21], v[12:13]
	v_add_f64_e32 v[10:11], v[22:23], v[18:19]
	s_delay_alu instid0(VALU_DEP_2) | instskip(NEXT) | instid1(VALU_DEP_2)
	v_fmac_f64_e32 v[20:21], v[16:17], v[14:15]
	v_dual_cndmask_b32 v7, v11, v9, s2 :: v_dual_cndmask_b32 v16, v10, v8, s2
	v_cndmask_b32_e64 v8, v8, v10, s2
	s_delay_alu instid0(VALU_DEP_3) | instskip(SKIP_1) | instid1(VALU_DEP_1)
	v_ldexp_f64 v[14:15], v[20:21], v3
	v_xor_b32_e32 v3, 0x80000000, v9
	v_cndmask_b32_e64 v3, v3, v11, s2
	s_delay_alu instid0(VALU_DEP_1) | instskip(SKIP_3) | instid1(VALU_DEP_4)
	v_bitop3_b32 v1, v3, v1, 0x80000000 bitop3:0x78
	v_bitop3_b32 v3, v7, v6, 0x80000000 bitop3:0x78
	v_cndmask_b32_e32 v6, 0, v8, vcc_lo
	v_cndmask_b32_e32 v8, 0, v16, vcc_lo
	;; [unrolled: 1-line block ×3, first 2 shown]
	s_delay_alu instid0(VALU_DEP_4) | instskip(SKIP_1) | instid1(VALU_DEP_1)
	v_cndmask_b32_e32 v9, 0x7ff80000, v3, vcc_lo
	v_dual_cndmask_b32 v11, v15, v13, s3 :: v_dual_cndmask_b32 v10, v14, v12, s3
	v_mul_f64_e32 v[6:7], v[10:11], v[6:7]
	s_delay_alu instid0(VALU_DEP_3) | instskip(SKIP_1) | instid1(VALU_DEP_3)
	v_mul_f64_e32 v[8:9], v[10:11], v[8:9]
	v_lshl_add_u64 v[10:11], v[4:5], 4, s[8:9]
	v_fma_f64 v[6:7], s[6:7], v[6:7], s[4:5]
	s_delay_alu instid0(VALU_DEP_3)
	v_fma_f64 v[8:9], s[6:7], v[8:9], s[4:5]
	global_store_b128 v[10:11], v[6:9], off
.LBB8_6:
	s_wait_xcnt 0x0
	s_or_b32 exec_lo, exec_lo, s10
	s_delay_alu instid0(SALU_CYCLE_1)
	s_mov_b32 s2, exec_lo
	v_cmpx_eq_u64_e64 s[18:19], v[4:5]
	s_cbranch_execz .LBB8_14
; %bb.7:
	s_wait_kmcnt 0x0
	s_add_nc_u64 s[2:3], s[14:15], s[18:19]
	s_mov_b64 s[10:11], 0xffffffff
	s_mov_b64 s[14:15], 0xd2511f53
	s_and_b64 s[10:11], s[2:3], s[10:11]
	s_xor_b32 s20, s3, s12
	s_mul_u64 s[10:11], s[10:11], s[14:15]
	s_mov_b32 s3, 0
	s_xor_b64 s[10:11], s[10:11], s[12:13]
	s_mov_b32 s21, s3
	s_mul_i32 s22, s2, 0xd2511f53
	s_mov_b32 s2, s11
	s_add_co_i32 s24, s13, 0xbb67ae85
	s_mul_i32 s25, s20, 0xd2511f53
	s_mul_u64 s[14:15], s[20:21], s[14:15]
	s_mov_b64 s[20:21], 0xcd9e8d57
	s_add_co_i32 s23, s12, 0x9e3779b9
	s_mul_i32 s14, s11, 0xcd9e8d57
	s_mul_u64 s[10:11], s[2:3], s[20:21]
	s_xor_b32 s2, s22, s24
	s_xor_b32 s10, s23, s11
	s_xor_b32 s2, s2, s15
	s_add_co_i32 s11, s12, 0x3c6ef372
	s_add_co_i32 s15, s13, 0x76cf5d0a
	s_mul_i32 s20, s10, 0xd2511f53
	s_mul_hi_u32 s10, s10, 0xd2511f53
	s_mul_i32 s21, s2, 0xcd9e8d57
	s_mul_hi_u32 s2, s2, 0xcd9e8d57
	s_xor_b32 s11, s14, s11
	s_xor_b32 s14, s25, s15
	s_xor_b32 s2, s11, s2
	s_xor_b32 s10, s14, s10
	s_add_co_i32 s11, s12, 0xdaa66d2b
	s_add_co_i32 s14, s13, 0x32370b8f
	s_mul_i32 s15, s2, 0xd2511f53
	s_mul_hi_u32 s2, s2, 0xd2511f53
	s_mul_i32 s22, s10, 0xcd9e8d57
	s_mul_hi_u32 s10, s10, 0xcd9e8d57
	s_xor_b32 s11, s21, s11
	;; [unrolled: 10-line block ×4, first 2 shown]
	s_xor_b32 s14, s20, s14
	s_xor_b32 s10, s11, s10
	;; [unrolled: 1-line block ×3, first 2 shown]
	s_add_co_i32 s2, s12, 0xb54cda56
	s_add_co_i32 s14, s13, 0x646e171e
	s_mul_i32 s20, s10, 0xd2511f53
	s_mul_hi_u32 s21, s10, 0xd2511f53
	s_mul_hi_u32 s10, s11, 0xcd9e8d57
	s_xor_b32 s2, s22, s2
	s_xor_b32 s14, s15, s14
	;; [unrolled: 1-line block ×3, first 2 shown]
	s_add_co_i32 s2, s13, 0x1fd5c5a3
	s_xor_b32 s14, s14, s21
	s_mul_hi_u32 s15, s10, 0xd2511f53
	s_xor_b32 s2, s20, s2
	s_mul_i32 s20, s14, 0xcd9e8d57
	s_xor_b32 s2, s2, s15
	s_add_co_i32 s15, s12, 0xf1bbcdc8
	s_mul_hi_u32 s21, s2, 0xcd9e8d57
	s_xor_b32 s15, s20, s15
	s_mul_i32 s11, s11, 0xcd9e8d57
	s_xor_b32 s15, s15, s21
	s_mul_hi_u32 s14, s14, 0xcd9e8d57
	s_mul_i32 s20, s15, 0xd2511f53
	s_mul_hi_u32 s15, s15, 0xd2511f53
	v_cvt_f64_u32_e32 v[4:5], s20
	s_add_co_i32 s20, s12, 0x5384540f
	s_delay_alu instid0(SALU_CYCLE_1) | instskip(SKIP_2) | instid1(SALU_CYCLE_1)
	s_xor_b32 s11, s11, s20
	s_add_co_i32 s20, s13, 0x96a522ad
	s_xor_b32 s11, s11, s14
	s_mul_i32 s14, s11, 0xd2511f53
	s_delay_alu instid0(SALU_CYCLE_1) | instskip(NEXT) | instid1(SALU_CYCLE_1)
	s_xor_b32 s14, s14, s20
	s_xor_b32 s14, s14, s15
	s_delay_alu instid0(SALU_CYCLE_1) | instskip(SKIP_1) | instid1(VALU_DEP_2)
	v_cvt_f64_u32_e32 v[6:7], s14
	s_mov_b64 s[14:15], 0x3df0000000000000
	v_ldexp_f64 v[4:5], v[4:5], 0xffffffe0
	s_delay_alu instid0(VALU_DEP_1) | instskip(NEXT) | instid1(VALU_DEP_1)
	v_fmaak_f64 v[4:5], s[14:15], v[4:5], 0x3be00000
	v_fmac_f64_e32 v[4:5], 0x3df00000, v[6:7]
	s_delay_alu instid0(VALU_DEP_1) | instskip(NEXT) | instid1(VALU_DEP_1)
	v_mul_f64_e32 v[4:5], 0x401921fb54442d18, v[4:5]
	v_cmp_ngt_f64_e64 s14, 0x41d00000, |v[4:5]|
	s_and_b32 vcc_lo, exec_lo, s14
	s_cbranch_vccz .LBB8_9
; %bb.8:
	v_ldexp_f64 v[6:7], |v[4:5]|, 0xffffff80
	v_cmp_le_f64_e64 vcc_lo, 0x7b000000, |v[4:5]|
	v_trig_preop_f64 v[8:9], |v[4:5]|, 0
	v_and_b32_e32 v1, 0x7fffffff, v5
	v_trig_preop_f64 v[10:11], |v[4:5]|, 1
	v_trig_preop_f64 v[20:21], |v[4:5]|, 2
	s_mov_b32 s14, s3
	s_delay_alu instid0(VALU_DEP_3) | instskip(NEXT) | instid1(VALU_DEP_1)
	v_dual_cndmask_b32 v7, v1, v7 :: v_dual_cndmask_b32 v6, v4, v6
	v_mul_f64_e32 v[12:13], v[8:9], v[6:7]
	s_delay_alu instid0(VALU_DEP_4) | instskip(NEXT) | instid1(VALU_DEP_4)
	v_mul_f64_e32 v[14:15], v[10:11], v[6:7]
	v_mul_f64_e32 v[26:27], v[20:21], v[6:7]
	s_delay_alu instid0(VALU_DEP_3) | instskip(NEXT) | instid1(VALU_DEP_3)
	v_fma_f64 v[8:9], v[8:9], v[6:7], -v[12:13]
	v_fma_f64 v[10:11], v[10:11], v[6:7], -v[14:15]
	s_delay_alu instid0(VALU_DEP_3) | instskip(NEXT) | instid1(VALU_DEP_3)
	v_fma_f64 v[6:7], v[20:21], v[6:7], -v[26:27]
	v_add_f64_e32 v[16:17], v[14:15], v[8:9]
	s_delay_alu instid0(VALU_DEP_1) | instskip(SKIP_1) | instid1(VALU_DEP_2)
	v_add_f64_e64 v[18:19], v[16:17], -v[14:15]
	v_add_f64_e32 v[24:25], v[12:13], v[16:17]
	v_add_f64_e64 v[22:23], v[16:17], -v[18:19]
	v_add_f64_e64 v[8:9], v[8:9], -v[18:19]
	s_delay_alu instid0(VALU_DEP_3) | instskip(NEXT) | instid1(VALU_DEP_3)
	v_ldexp_f64 v[18:19], v[24:25], -2
	v_add_f64_e64 v[14:15], v[14:15], -v[22:23]
	v_add_f64_e32 v[22:23], v[26:27], v[10:11]
	s_delay_alu instid0(VALU_DEP_3) | instskip(NEXT) | instid1(VALU_DEP_3)
	v_cmp_neq_f64_e64 vcc_lo, 0x7ff00000, |v[18:19]|
	v_add_f64_e32 v[8:9], v[8:9], v[14:15]
	v_fract_f64_e32 v[14:15], v[18:19]
	s_delay_alu instid0(VALU_DEP_1) | instskip(NEXT) | instid1(VALU_DEP_1)
	v_ldexp_f64 v[14:15], v[14:15], 2
	v_dual_add_f64 v[12:13], v[24:25], -v[12:13] :: v_dual_cndmask_b32 v14, 0, v14, vcc_lo
	s_delay_alu instid0(VALU_DEP_1) | instskip(SKIP_1) | instid1(VALU_DEP_1)
	v_dual_add_f64 v[12:13], v[16:17], -v[12:13] :: v_dual_cndmask_b32 v15, 0, v15, vcc_lo
	v_add_f64_e32 v[16:17], v[22:23], v[8:9]
	v_add_f64_e32 v[18:19], v[12:13], v[16:17]
	v_add_f64_e64 v[28:29], v[16:17], -v[22:23]
	s_delay_alu instid0(VALU_DEP_2) | instskip(NEXT) | instid1(VALU_DEP_2)
	v_add_f64_e32 v[24:25], v[18:19], v[14:15]
	v_add_f64_e64 v[34:35], v[16:17], -v[28:29]
	v_add_f64_e64 v[8:9], v[8:9], -v[28:29]
	;; [unrolled: 1-line block ×3, first 2 shown]
	s_delay_alu instid0(VALU_DEP_4) | instskip(SKIP_1) | instid1(VALU_DEP_3)
	v_cmp_gt_f64_e32 vcc_lo, 0, v[24:25]
	v_add_f64_e64 v[24:25], v[22:23], -v[26:27]
	v_add_f64_e64 v[12:13], v[16:17], -v[12:13]
	s_and_b32 s15, vcc_lo, exec_lo
	s_cselect_b32 s15, 0x40100000, 0
	s_delay_alu instid0(VALU_DEP_2) | instskip(SKIP_3) | instid1(VALU_DEP_4)
	v_add_f64_e64 v[32:33], v[22:23], -v[24:25]
	v_add_f64_e32 v[14:15], s[14:15], v[14:15]
	v_add_f64_e64 v[10:11], v[10:11], -v[24:25]
	v_add_f64_e64 v[22:23], v[22:23], -v[34:35]
	;; [unrolled: 1-line block ×3, first 2 shown]
	s_delay_alu instid0(VALU_DEP_4) | instskip(NEXT) | instid1(VALU_DEP_3)
	v_add_f64_e32 v[30:31], v[18:19], v[14:15]
	v_add_f64_e32 v[8:9], v[8:9], v[22:23]
	s_delay_alu instid0(VALU_DEP_3) | instskip(NEXT) | instid1(VALU_DEP_3)
	v_add_f64_e32 v[10:11], v[10:11], v[24:25]
	v_cvt_i32_f64_e32 v1, v[30:31]
	s_delay_alu instid0(VALU_DEP_2) | instskip(NEXT) | instid1(VALU_DEP_2)
	v_add_f64_e32 v[8:9], v[10:11], v[8:9]
	v_cvt_f64_i32_e32 v[28:29], v1
	s_delay_alu instid0(VALU_DEP_2) | instskip(NEXT) | instid1(VALU_DEP_2)
	v_add_f64_e32 v[6:7], v[6:7], v[8:9]
	v_add_f64_e64 v[14:15], v[14:15], -v[28:29]
	s_delay_alu instid0(VALU_DEP_2) | instskip(NEXT) | instid1(VALU_DEP_2)
	v_add_f64_e32 v[6:7], v[12:13], v[6:7]
	v_add_f64_e32 v[10:11], v[18:19], v[14:15]
	s_delay_alu instid0(VALU_DEP_1) | instskip(SKIP_1) | instid1(VALU_DEP_2)
	v_add_f64_e64 v[8:9], v[10:11], -v[14:15]
	v_cmp_le_f64_e32 vcc_lo, 0.5, v[10:11]
	v_add_f64_e64 v[8:9], v[18:19], -v[8:9]
	s_and_b32 s15, vcc_lo, exec_lo
	s_cselect_b32 s15, 0x3ff00000, 0
	v_add_co_ci_u32_e64 v1, null, 0, v1, vcc_lo
	s_delay_alu instid0(VALU_DEP_2) | instskip(SKIP_2) | instid1(VALU_DEP_1)
	v_add_f64_e32 v[6:7], v[6:7], v[8:9]
	v_add_f64_e64 v[8:9], v[10:11], -s[14:15]
	s_mov_b64 s[14:15], 0x3ff921fb54442d18
	v_add_f64_e32 v[10:11], v[8:9], v[6:7]
	s_delay_alu instid0(VALU_DEP_1) | instskip(SKIP_1) | instid1(VALU_DEP_2)
	v_mul_f64_e32 v[12:13], 0x3ff921fb54442d18, v[10:11]
	v_add_f64_e64 v[8:9], v[10:11], -v[8:9]
	v_fma_f64 v[14:15], v[10:11], s[14:15], -v[12:13]
	s_delay_alu instid0(VALU_DEP_2) | instskip(NEXT) | instid1(VALU_DEP_2)
	v_add_f64_e64 v[6:7], v[6:7], -v[8:9]
	v_fmamk_f64 v[8:9], v[10:11], 0x3c91a62633145c07, v[14:15]
	s_delay_alu instid0(VALU_DEP_1) | instskip(NEXT) | instid1(VALU_DEP_1)
	v_fmac_f64_e32 v[8:9], 0x3ff921fb54442d18, v[6:7]
	v_add_f64_e32 v[6:7], v[12:13], v[8:9]
	s_delay_alu instid0(VALU_DEP_1) | instskip(NEXT) | instid1(VALU_DEP_1)
	v_add_f64_e64 v[10:11], v[6:7], -v[12:13]
	v_add_f64_e64 v[8:9], v[8:9], -v[10:11]
	s_and_not1_b32 vcc_lo, exec_lo, s3
	s_cbranch_vccz .LBB8_10
	s_branch .LBB8_11
.LBB8_9:
                                        ; implicit-def: $vgpr1
                                        ; implicit-def: $vgpr6_vgpr7
                                        ; implicit-def: $vgpr8_vgpr9
.LBB8_10:
	s_mov_b64 s[14:15], 0x3fe45f306dc9c883
	s_delay_alu instid0(SALU_CYCLE_1) | instskip(SKIP_1) | instid1(VALU_DEP_1)
	v_mul_f64_e64 v[6:7], |v[4:5]|, s[14:15]
	s_mov_b64 s[14:15], 0xbff921fb54442d18
	v_rndne_f64_e32 v[10:11], v[6:7]
	s_delay_alu instid0(VALU_DEP_1) | instskip(SKIP_2) | instid1(VALU_DEP_3)
	v_fma_f64 v[6:7], v[10:11], s[14:15], |v[4:5]|
	v_mul_f64_e32 v[8:9], 0xbc91a62633145c00, v[10:11]
	v_cvt_i32_f64_e32 v1, v[10:11]
	v_fmamk_f64 v[16:17], v[10:11], 0xbc91a62633145c00, v[6:7]
	s_delay_alu instid0(VALU_DEP_3) | instskip(NEXT) | instid1(VALU_DEP_1)
	v_add_f64_e32 v[12:13], v[6:7], v[8:9]
	v_add_f64_e64 v[14:15], v[6:7], -v[12:13]
	s_delay_alu instid0(VALU_DEP_3) | instskip(NEXT) | instid1(VALU_DEP_2)
	v_add_f64_e64 v[6:7], v[12:13], -v[16:17]
	v_add_f64_e32 v[12:13], v[14:15], v[8:9]
	v_fmamk_f64 v[8:9], v[10:11], 0x3c91a62633145c00, v[8:9]
	s_delay_alu instid0(VALU_DEP_2) | instskip(NEXT) | instid1(VALU_DEP_1)
	v_add_f64_e32 v[6:7], v[6:7], v[12:13]
	v_add_f64_e64 v[6:7], v[6:7], -v[8:9]
	s_delay_alu instid0(VALU_DEP_1) | instskip(NEXT) | instid1(VALU_DEP_1)
	v_fmamk_f64 v[8:9], v[10:11], 0xb97b839a252049c0, v[6:7]
	v_add_f64_e32 v[6:7], v[16:17], v[8:9]
	s_delay_alu instid0(VALU_DEP_1) | instskip(NEXT) | instid1(VALU_DEP_1)
	v_add_f64_e64 v[12:13], v[6:7], -v[16:17]
	v_add_f64_e64 v[8:9], v[8:9], -v[12:13]
.LBB8_11:
	s_mul_i32 s10, s10, 0xd2511f53
	s_add_co_i32 s3, s13, 0xdb3d7428
	s_mul_hi_u32 s11, s11, 0xd2511f53
	s_xor_b32 s3, s10, s3
	s_mul_i32 s2, s2, 0xcd9e8d57
	s_xor_b32 s3, s3, s11
	s_delay_alu instid0(SALU_CYCLE_1) | instskip(SKIP_3) | instid1(SALU_CYCLE_1)
	s_mul_i32 s10, s3, 0xcd9e8d57
	s_mul_hi_u32 s3, s3, 0xcd9e8d57
	v_cvt_f64_u32_e32 v[10:11], s10
	s_add_co_i32 s10, s12, 0x8ff34781
	s_xor_b32 s2, s2, s10
	s_load_b64 s[10:11], s[0:1], 0x4
	s_xor_b32 s2, s2, s3
	s_delay_alu instid0(SALU_CYCLE_1) | instskip(SKIP_3) | instid1(SALU_CYCLE_1)
	v_cvt_f64_u32_e32 v[12:13], s2
	s_mov_b64 s[2:3], 0x3df0000000000000
	s_wait_kmcnt 0x0
	s_lshr_b32 s10, s10, 16
	s_mul_i32 s10, s10, s11
	s_delay_alu instid0(VALU_DEP_2) | instskip(NEXT) | instid1(VALU_DEP_1)
	v_ldexp_f64 v[10:11], v[10:11], 0xffffffe0
	v_fmaak_f64 v[10:11], s[2:3], v[10:11], 0x3be00000
	s_mov_b64 s[2:3], 0x3fe5555555555555
	s_delay_alu instid0(VALU_DEP_1) | instskip(NEXT) | instid1(VALU_DEP_1)
	v_fmac_f64_e32 v[10:11], 0x3df00000, v[12:13]
	v_frexp_mant_f64_e32 v[12:13], v[10:11]
	v_frexp_exp_i32_f64_e32 v3, v[10:11]
	s_delay_alu instid0(VALU_DEP_2) | instskip(SKIP_2) | instid1(VALU_DEP_3)
	v_cmp_gt_f64_e32 vcc_lo, s[2:3], v[12:13]
	s_mov_b64 s[2:3], 0x3fc3ab76bf559e2b
	v_cndmask_b32_e64 v14, 0, 1, vcc_lo
	v_subrev_co_ci_u32_e64 v3, null, 0, v3, vcc_lo
	v_cmp_class_f64_e64 vcc_lo, v[10:11], 0x204
	s_delay_alu instid0(VALU_DEP_3) | instskip(NEXT) | instid1(VALU_DEP_1)
	v_ldexp_f64 v[12:13], v[12:13], v14
	v_add_f64_e32 v[14:15], 1.0, v[12:13]
	v_add_f64_e32 v[20:21], -1.0, v[12:13]
	s_delay_alu instid0(VALU_DEP_2) | instskip(SKIP_1) | instid1(VALU_DEP_1)
	v_rcp_f64_e32 v[16:17], v[14:15]
	v_add_f64_e32 v[22:23], -1.0, v[14:15]
	v_add_f64_e64 v[12:13], v[12:13], -v[22:23]
	s_delay_alu instid0(TRANS32_DEP_1) | instskip(NEXT) | instid1(VALU_DEP_1)
	v_fma_f64 v[18:19], -v[14:15], v[16:17], 1.0
	v_fmac_f64_e32 v[16:17], v[18:19], v[16:17]
	s_delay_alu instid0(VALU_DEP_1) | instskip(NEXT) | instid1(VALU_DEP_1)
	v_fma_f64 v[18:19], -v[14:15], v[16:17], 1.0
	v_fmac_f64_e32 v[16:17], v[18:19], v[16:17]
	s_delay_alu instid0(VALU_DEP_1) | instskip(NEXT) | instid1(VALU_DEP_1)
	v_mul_f64_e32 v[18:19], v[20:21], v[16:17]
	v_mul_f64_e32 v[24:25], v[14:15], v[18:19]
	s_delay_alu instid0(VALU_DEP_1) | instskip(NEXT) | instid1(VALU_DEP_1)
	v_fma_f64 v[14:15], v[18:19], v[14:15], -v[24:25]
	v_fmac_f64_e32 v[14:15], v[18:19], v[12:13]
	s_delay_alu instid0(VALU_DEP_1) | instskip(NEXT) | instid1(VALU_DEP_1)
	v_add_f64_e32 v[12:13], v[24:25], v[14:15]
	v_add_f64_e64 v[22:23], v[20:21], -v[12:13]
	v_add_f64_e64 v[24:25], v[12:13], -v[24:25]
	s_delay_alu instid0(VALU_DEP_2) | instskip(NEXT) | instid1(VALU_DEP_2)
	v_add_f64_e64 v[20:21], v[20:21], -v[22:23]
	v_add_f64_e64 v[14:15], v[24:25], -v[14:15]
	s_delay_alu instid0(VALU_DEP_2) | instskip(NEXT) | instid1(VALU_DEP_1)
	v_add_f64_e64 v[12:13], v[20:21], -v[12:13]
	v_add_f64_e32 v[12:13], v[14:15], v[12:13]
	s_delay_alu instid0(VALU_DEP_1) | instskip(NEXT) | instid1(VALU_DEP_1)
	v_add_f64_e32 v[12:13], v[22:23], v[12:13]
	v_mul_f64_e32 v[12:13], v[16:17], v[12:13]
	s_delay_alu instid0(VALU_DEP_1) | instskip(NEXT) | instid1(VALU_DEP_1)
	v_add_f64_e32 v[14:15], v[18:19], v[12:13]
	v_mul_f64_e32 v[16:17], v[14:15], v[14:15]
	s_delay_alu instid0(VALU_DEP_1) | instskip(SKIP_2) | instid1(VALU_DEP_2)
	v_fmaak_f64 v[20:21], s[2:3], v[16:17], 0x3fc385386b47b09a
	v_mul_f64_e32 v[22:23], v[14:15], v[16:17]
	s_mov_b64 s[2:3], 0x3fe62e42fefa39ef
	v_fmaak_f64 v[20:21], v[16:17], v[20:21], 0x3fc7474dd7f4df2e
	s_delay_alu instid0(VALU_DEP_1) | instskip(NEXT) | instid1(VALU_DEP_1)
	v_fmaak_f64 v[20:21], v[16:17], v[20:21], 0x3fcc71c016291751
	v_fmaak_f64 v[20:21], v[16:17], v[20:21], 0x3fd249249b27acf1
	s_delay_alu instid0(VALU_DEP_1) | instskip(NEXT) | instid1(VALU_DEP_1)
	v_fmaak_f64 v[20:21], v[16:17], v[20:21], 0x3fd99999998ef7b6
	v_fmaak_f64 v[16:17], v[16:17], v[20:21], 0x3fe5555555555780
	v_ldexp_f64 v[20:21], v[14:15], 1
	v_add_f64_e64 v[14:15], v[14:15], -v[18:19]
	s_delay_alu instid0(VALU_DEP_3) | instskip(SKIP_1) | instid1(VALU_DEP_3)
	v_mul_f64_e32 v[16:17], v[22:23], v[16:17]
	v_cvt_f64_i32_e32 v[22:23], v3
	v_add_f64_e64 v[12:13], v[12:13], -v[14:15]
	s_delay_alu instid0(VALU_DEP_3) | instskip(NEXT) | instid1(VALU_DEP_2)
	v_add_f64_e32 v[18:19], v[20:21], v[16:17]
	v_ldexp_f64 v[12:13], v[12:13], 1
	s_delay_alu instid0(VALU_DEP_2) | instskip(SKIP_1) | instid1(VALU_DEP_2)
	v_add_f64_e64 v[14:15], v[18:19], -v[20:21]
	v_mul_f64_e32 v[20:21], 0x3fe62e42fefa39ef, v[22:23]
	v_add_f64_e64 v[14:15], v[16:17], -v[14:15]
	s_delay_alu instid0(VALU_DEP_2) | instskip(SKIP_1) | instid1(VALU_DEP_2)
	v_fma_f64 v[16:17], v[22:23], s[2:3], -v[20:21]
	s_lshl_b64 s[2:3], s[18:19], 1
	v_add_f64_e32 v[12:13], v[12:13], v[14:15]
	s_delay_alu instid0(VALU_DEP_2) | instskip(NEXT) | instid1(VALU_DEP_1)
	v_fmamk_f64 v[14:15], v[22:23], 0x3c7abc9e3b39803f, v[16:17]
	v_add_f64_e32 v[16:17], v[20:21], v[14:15]
	s_delay_alu instid0(VALU_DEP_3) | instskip(NEXT) | instid1(VALU_DEP_2)
	v_add_f64_e32 v[22:23], v[18:19], v[12:13]
	v_add_f64_e64 v[20:21], v[16:17], -v[20:21]
	s_delay_alu instid0(VALU_DEP_2) | instskip(SKIP_1) | instid1(VALU_DEP_3)
	v_add_f64_e32 v[24:25], v[16:17], v[22:23]
	v_add_f64_e64 v[18:19], v[22:23], -v[18:19]
	v_add_f64_e64 v[14:15], v[14:15], -v[20:21]
	s_delay_alu instid0(VALU_DEP_3) | instskip(NEXT) | instid1(VALU_DEP_3)
	v_add_f64_e64 v[26:27], v[24:25], -v[16:17]
	v_add_f64_e64 v[12:13], v[12:13], -v[18:19]
	s_delay_alu instid0(VALU_DEP_2) | instskip(SKIP_1) | instid1(VALU_DEP_3)
	v_add_f64_e64 v[28:29], v[24:25], -v[26:27]
	v_add_f64_e64 v[18:19], v[22:23], -v[26:27]
	v_add_f64_e32 v[20:21], v[14:15], v[12:13]
	v_mul_f64_e32 v[26:27], 0.5, v[8:9]
	s_delay_alu instid0(VALU_DEP_4) | instskip(NEXT) | instid1(VALU_DEP_1)
	v_add_f64_e64 v[16:17], v[16:17], -v[28:29]
	v_add_f64_e32 v[16:17], v[18:19], v[16:17]
	s_delay_alu instid0(VALU_DEP_4) | instskip(NEXT) | instid1(VALU_DEP_2)
	v_add_f64_e64 v[18:19], v[20:21], -v[14:15]
	v_add_f64_e32 v[16:17], v[20:21], v[16:17]
	s_delay_alu instid0(VALU_DEP_2) | instskip(SKIP_1) | instid1(VALU_DEP_3)
	v_add_f64_e64 v[20:21], v[20:21], -v[18:19]
	v_add_f64_e64 v[12:13], v[12:13], -v[18:19]
	v_add_f64_e32 v[22:23], v[24:25], v[16:17]
	s_delay_alu instid0(VALU_DEP_3) | instskip(NEXT) | instid1(VALU_DEP_2)
	v_add_f64_e64 v[14:15], v[14:15], -v[20:21]
	v_add_f64_e64 v[18:19], v[22:23], -v[24:25]
	s_delay_alu instid0(VALU_DEP_2) | instskip(NEXT) | instid1(VALU_DEP_2)
	v_add_f64_e32 v[12:13], v[12:13], v[14:15]
	v_add_f64_e64 v[14:15], v[16:17], -v[18:19]
	s_delay_alu instid0(VALU_DEP_1) | instskip(SKIP_1) | instid1(VALU_DEP_2)
	v_add_f64_e32 v[12:13], v[12:13], v[14:15]
	v_mul_f64_e32 v[14:15], v[6:7], v[6:7]
	v_add_f64_e32 v[12:13], v[22:23], v[12:13]
	s_delay_alu instid0(VALU_DEP_2) | instskip(SKIP_1) | instid1(VALU_DEP_3)
	v_mul_f64_e32 v[16:17], 0.5, v[14:15]
	v_mul_f64_e64 v[28:29], v[6:7], -v[14:15]
	v_dual_cndmask_b32 v13, v13, v11 :: v_dual_cndmask_b32 v12, v12, v10
	v_cmp_ngt_f64_e32 vcc_lo, 0, v[10:11]
	s_delay_alu instid0(VALU_DEP_4) | instskip(NEXT) | instid1(VALU_DEP_3)
	v_add_f64_e64 v[20:21], -v[16:17], 1.0
	v_mul_f64_e32 v[12:13], -2.0, v[12:13]
	s_delay_alu instid0(VALU_DEP_2) | instskip(NEXT) | instid1(VALU_DEP_2)
	v_add_f64_e64 v[24:25], -v[20:21], 1.0
	v_cndmask_b32_e32 v3, 0x7ff80000, v13, vcc_lo
	v_cmp_nge_f64_e32 vcc_lo, 0, v[10:11]
	s_delay_alu instid0(VALU_DEP_3) | instskip(SKIP_2) | instid1(VALU_DEP_3)
	v_add_f64_e64 v[16:17], v[24:25], -v[16:17]
	v_cndmask_b32_e32 v12, 0, v12, vcc_lo
	v_cmp_neq_f64_e32 vcc_lo, 0, v[10:11]
	v_fma_f64 v[16:17], v[6:7], -v[8:9], v[16:17]
	v_cndmask_b32_e32 v13, 0x7ff00000, v3, vcc_lo
	v_dual_lshlrev_b32 v1, 30, v1 :: v_dual_bitop2_b32 v3, 1, v1 bitop3:0x40
	s_delay_alu instid0(VALU_DEP_2) | instskip(SKIP_2) | instid1(VALU_DEP_2)
	v_cmp_gt_f64_e32 vcc_lo, 0x10000000, v[12:13]
	s_and_b32 s0, vcc_lo, exec_lo
	s_cselect_b32 s0, 0x100, 0
	v_cmp_eq_u32_e32 vcc_lo, 0, v3
	v_ldexp_f64 v[10:11], v[12:13], s0
	s_mov_b64 s[0:1], 0x3de5e0b2f9a43bb8
	s_delay_alu instid0(SALU_CYCLE_1) | instskip(SKIP_1) | instid1(VALU_DEP_1)
	v_fmaak_f64 v[30:31], s[0:1], v[14:15], 0xbe5ae600b42fdfa7
	s_mov_b64 s[0:1], 0xbda907db46cc5e42
	v_fmaak_f64 v[24:25], v[14:15], v[30:31], 0x3ec71de3796cde01
	v_mul_f64_e32 v[30:31], v[14:15], v[14:15]
	s_delay_alu instid0(VALU_DEP_2) | instskip(NEXT) | instid1(VALU_DEP_1)
	v_fmaak_f64 v[24:25], v[14:15], v[24:25], 0xbf2a01a019e83e5c
	v_fmaak_f64 v[24:25], v[14:15], v[24:25], 0x3f81111111110bb3
	s_delay_alu instid0(VALU_DEP_1)
	v_fmac_f64_e32 v[26:27], v[28:29], v[24:25]
	v_rsq_f64_e32 v[12:13], v[10:11]
	v_fmaak_f64 v[24:25], s[0:1], v[14:15], 0x3e21eeb69037ab78
	s_cselect_b32 s1, 0xffffff80, 0
	v_cmp_class_f64_e64 s0, v[4:5], 0x1f8
	v_xor_b32_e32 v5, v1, v5
	v_and_b32_e32 v1, 0x80000000, v1
	s_delay_alu instid0(VALU_DEP_4) | instskip(NEXT) | instid1(VALU_DEP_3)
	v_fmaak_f64 v[24:25], v[14:15], v[24:25], 0xbe927e4fa17f65f6
	v_and_b32_e32 v5, 0x80000000, v5
	v_fma_f64 v[8:9], v[14:15], v[26:27], -v[8:9]
	s_delay_alu instid0(TRANS32_DEP_1) | instskip(SKIP_1) | instid1(VALU_DEP_3)
	v_mul_f64_e32 v[18:19], v[10:11], v[12:13]
	v_mul_f64_e32 v[12:13], 0.5, v[12:13]
	v_fmamk_f64 v[8:9], v[28:29], 0xbfc5555555555555, v[8:9]
	s_delay_alu instid0(VALU_DEP_1) | instskip(NEXT) | instid1(VALU_DEP_3)
	v_add_f64_e64 v[6:7], v[6:7], -v[8:9]
	v_fma_f64 v[22:23], -v[12:13], v[18:19], 0.5
	s_delay_alu instid0(VALU_DEP_2) | instskip(NEXT) | instid1(VALU_DEP_2)
	v_xor_b32_e32 v4, 0x80000000, v7
	v_fmac_f64_e32 v[18:19], v[18:19], v[22:23]
	v_fmac_f64_e32 v[12:13], v[12:13], v[22:23]
	s_delay_alu instid0(VALU_DEP_2) | instskip(NEXT) | instid1(VALU_DEP_1)
	v_fma_f64 v[22:23], -v[18:19], v[18:19], v[10:11]
	v_fmac_f64_e32 v[18:19], v[22:23], v[12:13]
	v_fmaak_f64 v[22:23], v[14:15], v[24:25], 0x3efa01a019f4ec90
	s_delay_alu instid0(VALU_DEP_1) | instskip(NEXT) | instid1(VALU_DEP_1)
	v_fmaak_f64 v[22:23], v[14:15], v[22:23], 0xbf56c16c16c16967
	v_fmaak_f64 v[14:15], v[14:15], v[22:23], 0x3fa5555555555555
	s_delay_alu instid0(VALU_DEP_1) | instskip(SKIP_1) | instid1(VALU_DEP_2)
	v_fmac_f64_e32 v[16:17], v[30:31], v[14:15]
	v_fma_f64 v[14:15], -v[18:19], v[18:19], v[10:11]
	v_add_f64_e32 v[8:9], v[20:21], v[16:17]
	s_delay_alu instid0(VALU_DEP_2) | instskip(NEXT) | instid1(VALU_DEP_2)
	v_fmac_f64_e32 v[18:19], v[14:15], v[12:13]
	v_dual_cndmask_b32 v4, v4, v9 :: v_dual_cndmask_b32 v7, v9, v7
	s_delay_alu instid0(VALU_DEP_3) | instskip(NEXT) | instid1(VALU_DEP_2)
	v_dual_cndmask_b32 v3, v8, v6 :: v_dual_cndmask_b32 v6, v6, v8
	v_xor_b32_e32 v1, v4, v1
	s_delay_alu instid0(VALU_DEP_2) | instskip(NEXT) | instid1(VALU_DEP_3)
	v_dual_cndmask_b32 v4, 0, v6, s0 :: v_dual_bitop2_b32 v7, v7, v5 bitop3:0x14
	v_cndmask_b32_e64 v6, 0, v3, s0
	v_ldexp_f64 v[12:13], v[18:19], s1
	v_cmp_class_f64_e64 s1, v[10:11], 0x260
	v_cndmask_b32_e64 v5, 0x7ff80000, v1, s0
	v_cndmask_b32_e64 v7, 0x7ff80000, v7, s0
	v_bfe_u32 v1, v0, 10, 10
	v_bfe_u32 v0, v0, 20, 10
	s_delay_alu instid0(VALU_DEP_2) | instskip(NEXT) | instid1(VALU_DEP_1)
	v_mul_u32_u24_e32 v1, s11, v1
	v_mad_u32 v1, s10, v2, v1
	s_mov_b64 s[10:11], 0
	s_delay_alu instid0(VALU_DEP_1) | instskip(SKIP_2) | instid1(SALU_CYCLE_1)
	v_add_lshl_u32 v0, v1, v0, 4
	v_dual_cndmask_b32 v9, v13, v11, s1 :: v_dual_cndmask_b32 v8, v12, v10, s1
	s_sub_nc_u64 s[0:1], s[16:17], s[2:3]
	v_cmp_lt_i64_e64 s12, s[0:1], 1
	s_delay_alu instid0(VALU_DEP_2)
	v_mul_f64_e32 v[4:5], v[8:9], v[4:5]
	v_mul_f64_e32 v[6:7], v[8:9], v[6:7]
	s_and_b32 vcc_lo, exec_lo, s12
	ds_store_b128 v0, v[4:7]
	s_cbranch_vccnz .LBB8_14
; %bb.12:
	v_mov_b32_e32 v1, 0
	s_lshl_b64 s[2:3], s[2:3], 3
	s_delay_alu instid0(SALU_CYCLE_1)
	s_add_nc_u64 s[2:3], s[8:9], s[2:3]
.LBB8_13:                               ; =>This Inner Loop Header: Depth=1
	ds_load_b64 v[2:3], v0
	s_add_nc_u64 s[10:11], s[10:11], 1
	v_add_nc_u32_e32 v0, 8, v0
	v_cmp_gt_i64_e64 s8, s[0:1], s[10:11]
	s_and_b32 vcc_lo, exec_lo, s8
	s_wait_dscnt 0x0
	v_fma_f64 v[2:3], s[6:7], v[2:3], s[4:5]
	global_store_b64 v1, v[2:3], s[2:3]
	s_wait_xcnt 0x0
	s_add_nc_u64 s[2:3], s[2:3], 8
	s_cbranch_vccnz .LBB8_13
.LBB8_14:
	s_endpgm
	.section	.rodata,"a",@progbits
	.p2align	6, 0x0
	.amdhsa_kernel _ZN2at6native12_GLOBAL__N_124philox_single_key_kernelIdZZZZNS0_20_philox_normal_cuda_ERNS_6TensorERKS3_ddENKUlvE_clEvENKUlvE_clEvENKUlvE_clEvEUlmmE_ZZZNS0_20_philox_normal_cuda_ES4_S6_ddENKS7_clEvENKS8_clEvEUldE_EEvPT_PKmlT0_T1_
		.amdhsa_group_segment_fixed_size 16384
		.amdhsa_private_segment_fixed_size 0
		.amdhsa_kernarg_size 304
		.amdhsa_user_sgpr_count 4
		.amdhsa_user_sgpr_dispatch_ptr 1
		.amdhsa_user_sgpr_queue_ptr 0
		.amdhsa_user_sgpr_kernarg_segment_ptr 1
		.amdhsa_user_sgpr_dispatch_id 0
		.amdhsa_user_sgpr_kernarg_preload_length 0
		.amdhsa_user_sgpr_kernarg_preload_offset 0
		.amdhsa_user_sgpr_private_segment_size 0
		.amdhsa_wavefront_size32 1
		.amdhsa_uses_dynamic_stack 0
		.amdhsa_enable_private_segment 0
		.amdhsa_system_sgpr_workgroup_id_x 1
		.amdhsa_system_sgpr_workgroup_id_y 0
		.amdhsa_system_sgpr_workgroup_id_z 0
		.amdhsa_system_sgpr_workgroup_info 0
		.amdhsa_system_vgpr_workitem_id 2
		.amdhsa_next_free_vgpr 42
		.amdhsa_next_free_sgpr 26
		.amdhsa_named_barrier_count 0
		.amdhsa_reserve_vcc 1
		.amdhsa_float_round_mode_32 0
		.amdhsa_float_round_mode_16_64 0
		.amdhsa_float_denorm_mode_32 3
		.amdhsa_float_denorm_mode_16_64 3
		.amdhsa_fp16_overflow 0
		.amdhsa_memory_ordered 1
		.amdhsa_forward_progress 1
		.amdhsa_inst_pref_size 50
		.amdhsa_round_robin_scheduling 0
		.amdhsa_exception_fp_ieee_invalid_op 0
		.amdhsa_exception_fp_denorm_src 0
		.amdhsa_exception_fp_ieee_div_zero 0
		.amdhsa_exception_fp_ieee_overflow 0
		.amdhsa_exception_fp_ieee_underflow 0
		.amdhsa_exception_fp_ieee_inexact 0
		.amdhsa_exception_int_div_zero 0
	.end_amdhsa_kernel
	.section	.text._ZN2at6native12_GLOBAL__N_124philox_single_key_kernelIdZZZZNS0_20_philox_normal_cuda_ERNS_6TensorERKS3_ddENKUlvE_clEvENKUlvE_clEvENKUlvE_clEvEUlmmE_ZZZNS0_20_philox_normal_cuda_ES4_S6_ddENKS7_clEvENKS8_clEvEUldE_EEvPT_PKmlT0_T1_,"axG",@progbits,_ZN2at6native12_GLOBAL__N_124philox_single_key_kernelIdZZZZNS0_20_philox_normal_cuda_ERNS_6TensorERKS3_ddENKUlvE_clEvENKUlvE_clEvENKUlvE_clEvEUlmmE_ZZZNS0_20_philox_normal_cuda_ES4_S6_ddENKS7_clEvENKS8_clEvEUldE_EEvPT_PKmlT0_T1_,comdat
.Lfunc_end8:
	.size	_ZN2at6native12_GLOBAL__N_124philox_single_key_kernelIdZZZZNS0_20_philox_normal_cuda_ERNS_6TensorERKS3_ddENKUlvE_clEvENKUlvE_clEvENKUlvE_clEvEUlmmE_ZZZNS0_20_philox_normal_cuda_ES4_S6_ddENKS7_clEvENKS8_clEvEUldE_EEvPT_PKmlT0_T1_, .Lfunc_end8-_ZN2at6native12_GLOBAL__N_124philox_single_key_kernelIdZZZZNS0_20_philox_normal_cuda_ERNS_6TensorERKS3_ddENKUlvE_clEvENKUlvE_clEvENKUlvE_clEvEUlmmE_ZZZNS0_20_philox_normal_cuda_ES4_S6_ddENKS7_clEvENKS8_clEvEUldE_EEvPT_PKmlT0_T1_
                                        ; -- End function
	.set _ZN2at6native12_GLOBAL__N_124philox_single_key_kernelIdZZZZNS0_20_philox_normal_cuda_ERNS_6TensorERKS3_ddENKUlvE_clEvENKUlvE_clEvENKUlvE_clEvEUlmmE_ZZZNS0_20_philox_normal_cuda_ES4_S6_ddENKS7_clEvENKS8_clEvEUldE_EEvPT_PKmlT0_T1_.num_vgpr, 42
	.set _ZN2at6native12_GLOBAL__N_124philox_single_key_kernelIdZZZZNS0_20_philox_normal_cuda_ERNS_6TensorERKS3_ddENKUlvE_clEvENKUlvE_clEvENKUlvE_clEvEUlmmE_ZZZNS0_20_philox_normal_cuda_ES4_S6_ddENKS7_clEvENKS8_clEvEUldE_EEvPT_PKmlT0_T1_.num_agpr, 0
	.set _ZN2at6native12_GLOBAL__N_124philox_single_key_kernelIdZZZZNS0_20_philox_normal_cuda_ERNS_6TensorERKS3_ddENKUlvE_clEvENKUlvE_clEvENKUlvE_clEvEUlmmE_ZZZNS0_20_philox_normal_cuda_ES4_S6_ddENKS7_clEvENKS8_clEvEUldE_EEvPT_PKmlT0_T1_.numbered_sgpr, 26
	.set _ZN2at6native12_GLOBAL__N_124philox_single_key_kernelIdZZZZNS0_20_philox_normal_cuda_ERNS_6TensorERKS3_ddENKUlvE_clEvENKUlvE_clEvENKUlvE_clEvEUlmmE_ZZZNS0_20_philox_normal_cuda_ES4_S6_ddENKS7_clEvENKS8_clEvEUldE_EEvPT_PKmlT0_T1_.num_named_barrier, 0
	.set _ZN2at6native12_GLOBAL__N_124philox_single_key_kernelIdZZZZNS0_20_philox_normal_cuda_ERNS_6TensorERKS3_ddENKUlvE_clEvENKUlvE_clEvENKUlvE_clEvEUlmmE_ZZZNS0_20_philox_normal_cuda_ES4_S6_ddENKS7_clEvENKS8_clEvEUldE_EEvPT_PKmlT0_T1_.private_seg_size, 0
	.set _ZN2at6native12_GLOBAL__N_124philox_single_key_kernelIdZZZZNS0_20_philox_normal_cuda_ERNS_6TensorERKS3_ddENKUlvE_clEvENKUlvE_clEvENKUlvE_clEvEUlmmE_ZZZNS0_20_philox_normal_cuda_ES4_S6_ddENKS7_clEvENKS8_clEvEUldE_EEvPT_PKmlT0_T1_.uses_vcc, 1
	.set _ZN2at6native12_GLOBAL__N_124philox_single_key_kernelIdZZZZNS0_20_philox_normal_cuda_ERNS_6TensorERKS3_ddENKUlvE_clEvENKUlvE_clEvENKUlvE_clEvEUlmmE_ZZZNS0_20_philox_normal_cuda_ES4_S6_ddENKS7_clEvENKS8_clEvEUldE_EEvPT_PKmlT0_T1_.uses_flat_scratch, 0
	.set _ZN2at6native12_GLOBAL__N_124philox_single_key_kernelIdZZZZNS0_20_philox_normal_cuda_ERNS_6TensorERKS3_ddENKUlvE_clEvENKUlvE_clEvENKUlvE_clEvEUlmmE_ZZZNS0_20_philox_normal_cuda_ES4_S6_ddENKS7_clEvENKS8_clEvEUldE_EEvPT_PKmlT0_T1_.has_dyn_sized_stack, 0
	.set _ZN2at6native12_GLOBAL__N_124philox_single_key_kernelIdZZZZNS0_20_philox_normal_cuda_ERNS_6TensorERKS3_ddENKUlvE_clEvENKUlvE_clEvENKUlvE_clEvEUlmmE_ZZZNS0_20_philox_normal_cuda_ES4_S6_ddENKS7_clEvENKS8_clEvEUldE_EEvPT_PKmlT0_T1_.has_recursion, 0
	.set _ZN2at6native12_GLOBAL__N_124philox_single_key_kernelIdZZZZNS0_20_philox_normal_cuda_ERNS_6TensorERKS3_ddENKUlvE_clEvENKUlvE_clEvENKUlvE_clEvEUlmmE_ZZZNS0_20_philox_normal_cuda_ES4_S6_ddENKS7_clEvENKS8_clEvEUldE_EEvPT_PKmlT0_T1_.has_indirect_call, 0
	.section	.AMDGPU.csdata,"",@progbits
; Kernel info:
; codeLenInByte = 6328
; TotalNumSgprs: 28
; NumVgprs: 42
; ScratchSize: 0
; MemoryBound: 0
; FloatMode: 240
; IeeeMode: 1
; LDSByteSize: 16384 bytes/workgroup (compile time only)
; SGPRBlocks: 0
; VGPRBlocks: 2
; NumSGPRsForWavesPerEU: 28
; NumVGPRsForWavesPerEU: 42
; NamedBarCnt: 0
; Occupancy: 16
; WaveLimiterHint : 0
; COMPUTE_PGM_RSRC2:SCRATCH_EN: 0
; COMPUTE_PGM_RSRC2:USER_SGPR: 4
; COMPUTE_PGM_RSRC2:TRAP_HANDLER: 0
; COMPUTE_PGM_RSRC2:TGID_X_EN: 1
; COMPUTE_PGM_RSRC2:TGID_Y_EN: 0
; COMPUTE_PGM_RSRC2:TGID_Z_EN: 0
; COMPUTE_PGM_RSRC2:TIDIG_COMP_CNT: 2
	.section	.text._ZN2at6native12_GLOBAL__N_123philox_multi_key_kernelIdZZZZNS0_20_philox_normal_cuda_ERNS_6TensorERKS3_ddENKUlvE_clEvENKUlvE_clEvENKUlvE_clEvEUlmmE_ZZZNS0_20_philox_normal_cuda_ES4_S6_ddENKS7_clEvENKS8_clEvEUldE_EEvPT_PKmllT0_T1_16OffsetCalculatorILi1EjLb0EE,"axG",@progbits,_ZN2at6native12_GLOBAL__N_123philox_multi_key_kernelIdZZZZNS0_20_philox_normal_cuda_ERNS_6TensorERKS3_ddENKUlvE_clEvENKUlvE_clEvENKUlvE_clEvEUlmmE_ZZZNS0_20_philox_normal_cuda_ES4_S6_ddENKS7_clEvENKS8_clEvEUldE_EEvPT_PKmllT0_T1_16OffsetCalculatorILi1EjLb0EE,comdat
	.globl	_ZN2at6native12_GLOBAL__N_123philox_multi_key_kernelIdZZZZNS0_20_philox_normal_cuda_ERNS_6TensorERKS3_ddENKUlvE_clEvENKUlvE_clEvENKUlvE_clEvEUlmmE_ZZZNS0_20_philox_normal_cuda_ES4_S6_ddENKS7_clEvENKS8_clEvEUldE_EEvPT_PKmllT0_T1_16OffsetCalculatorILi1EjLb0EE ; -- Begin function _ZN2at6native12_GLOBAL__N_123philox_multi_key_kernelIdZZZZNS0_20_philox_normal_cuda_ERNS_6TensorERKS3_ddENKUlvE_clEvENKUlvE_clEvENKUlvE_clEvEUlmmE_ZZZNS0_20_philox_normal_cuda_ES4_S6_ddENKS7_clEvENKS8_clEvEUldE_EEvPT_PKmllT0_T1_16OffsetCalculatorILi1EjLb0EE
	.p2align	8
	.type	_ZN2at6native12_GLOBAL__N_123philox_multi_key_kernelIdZZZZNS0_20_philox_normal_cuda_ERNS_6TensorERKS3_ddENKUlvE_clEvENKUlvE_clEvENKUlvE_clEvEUlmmE_ZZZNS0_20_philox_normal_cuda_ES4_S6_ddENKS7_clEvENKS8_clEvEUldE_EEvPT_PKmllT0_T1_16OffsetCalculatorILi1EjLb0EE,@function
_ZN2at6native12_GLOBAL__N_123philox_multi_key_kernelIdZZZZNS0_20_philox_normal_cuda_ERNS_6TensorERKS3_ddENKUlvE_clEvENKUlvE_clEvENKUlvE_clEvEUlmmE_ZZZNS0_20_philox_normal_cuda_ES4_S6_ddENKS7_clEvENKS8_clEvEUldE_EEvPT_PKmllT0_T1_16OffsetCalculatorILi1EjLb0EE: ; @_ZN2at6native12_GLOBAL__N_123philox_multi_key_kernelIdZZZZNS0_20_philox_normal_cuda_ERNS_6TensorERKS3_ddENKUlvE_clEvENKUlvE_clEvENKUlvE_clEvEUlmmE_ZZZNS0_20_philox_normal_cuda_ES4_S6_ddENKS7_clEvENKS8_clEvEUldE_EEvPT_PKmllT0_T1_16OffsetCalculatorILi1EjLb0EE
; %bb.0:
	s_clause 0x1
	s_load_b128 s[4:7], s[0:1], 0x10
	s_load_b32 s10, s[0:1], 0x14c
	s_bfe_u32 s2, ttmp6, 0x4000c
	v_mov_b32_e32 v4, 0
	s_add_co_i32 s2, s2, 1
	s_mov_b32 s3, 0
	s_mul_i32 s13, ttmp9, s2
	s_and_b32 s11, ttmp6, 15
	s_getreg_b32 s12, hwreg(HW_REG_IB_STS2, 6, 4)
	v_mov_b32_e32 v1, v4
	s_add_co_i32 s11, s11, s13
	s_wait_kmcnt 0x0
	s_add_nc_u64 s[8:9], s[6:7], 1
	s_and_b32 s10, s10, 0xffff
	s_lshr_b32 s2, s9, 31
	s_delay_alu instid0(SALU_CYCLE_1) | instskip(NEXT) | instid1(SALU_CYCLE_1)
	s_add_nc_u64 s[2:3], s[8:9], s[2:3]
	s_ashr_i64 s[8:9], s[2:3], 1
	s_cmp_eq_u32 s12, 0
	s_cselect_b32 s2, ttmp9, s11
	s_delay_alu instid0(SALU_CYCLE_1)
	v_mad_nc_u64_u32 v[2:3], s10, s2, v[0:1]
	s_mul_u64 s[2:3], s[8:9], s[4:5]
	s_delay_alu instid0(VALU_DEP_1) | instid1(SALU_CYCLE_1)
	v_cmp_gt_i64_e32 vcc_lo, s[2:3], v[2:3]
	s_and_saveexec_b32 s2, vcc_lo
	s_cbranch_execz .LBB9_26
; %bb.1:
	v_or_b32_e32 v5, s9, v3
                                        ; implicit-def: $vgpr0_vgpr1
	s_mov_b32 s2, exec_lo
	s_delay_alu instid0(VALU_DEP_1)
	v_cmpx_ne_u64_e32 0, v[4:5]
	s_xor_b32 s3, exec_lo, s2
	s_cbranch_execz .LBB9_3
; %bb.2:
	s_ashr_i32 s4, s9, 31
	s_mov_b32 s19, 0
	s_mov_b32 s5, s4
	v_dual_mov_b32 v7, 0 :: v_dual_ashrrev_i32 v0, 31, v3
	s_add_nc_u64 s[10:11], s[8:9], s[4:5]
	s_delay_alu instid0(SALU_CYCLE_1) | instskip(NEXT) | instid1(VALU_DEP_1)
	s_xor_b64 s[10:11], s[10:11], s[4:5]
	v_dual_mov_b32 v1, v0 :: v_dual_mov_b32 v9, v7
	s_cvt_f32_u32 s2, s10
	s_cvt_f32_u32 s5, s11
	s_sub_nc_u64 s[14:15], 0, s[10:11]
	s_delay_alu instid0(VALU_DEP_1) | instskip(SKIP_2) | instid1(SALU_CYCLE_3)
	v_add_nc_u64_e32 v[4:5], v[2:3], v[0:1]
	v_mov_b32_e32 v15, v7
	s_fmamk_f32 s2, s5, 0x4f800000, s2
	v_s_rcp_f32 s2, s2
	s_delay_alu instid0(VALU_DEP_2) | instskip(NEXT) | instid1(VALU_DEP_3)
	v_xor_b32_e32 v6, v4, v0
	v_xor_b32_e32 v8, v5, v0
	;; [unrolled: 1-line block ×3, first 2 shown]
	s_delay_alu instid0(TRANS32_DEP_1) | instskip(NEXT) | instid1(SALU_CYCLE_3)
	s_mul_f32 s2, s2, 0x5f7ffffc
	s_mul_f32 s5, s2, 0x2f800000
	s_delay_alu instid0(SALU_CYCLE_3) | instskip(NEXT) | instid1(SALU_CYCLE_3)
	s_trunc_f32 s5, s5
	s_fmamk_f32 s2, s5, 0xcf800000, s2
	s_cvt_u32_f32 s13, s5
	s_delay_alu instid0(SALU_CYCLE_2) | instskip(NEXT) | instid1(SALU_CYCLE_3)
	s_cvt_u32_f32 s12, s2
	s_mul_u64 s[16:17], s[14:15], s[12:13]
	s_delay_alu instid0(SALU_CYCLE_1)
	s_mul_hi_u32 s21, s12, s17
	s_mul_i32 s20, s12, s17
	s_mul_hi_u32 s18, s12, s16
	s_mul_i32 s5, s13, s16
	s_add_nc_u64 s[20:21], s[18:19], s[20:21]
	s_mul_hi_u32 s2, s13, s16
	s_mul_hi_u32 s22, s13, s17
	s_add_co_u32 s5, s20, s5
	s_add_co_ci_u32 s18, s21, s2
	s_mul_i32 s16, s13, s17
	s_add_co_ci_u32 s17, s22, 0
	s_delay_alu instid0(SALU_CYCLE_1) | instskip(NEXT) | instid1(SALU_CYCLE_1)
	s_add_nc_u64 s[16:17], s[18:19], s[16:17]
	s_add_co_u32 s12, s12, s16
	s_cselect_b32 s2, -1, 0
	s_delay_alu instid0(SALU_CYCLE_1) | instskip(SKIP_1) | instid1(SALU_CYCLE_1)
	s_cmp_lg_u32 s2, 0
	s_add_co_ci_u32 s13, s13, s17
	s_mul_u64 s[14:15], s[14:15], s[12:13]
	s_delay_alu instid0(SALU_CYCLE_1)
	s_mul_hi_u32 s17, s12, s15
	s_mul_i32 s16, s12, s15
	s_mul_hi_u32 s18, s12, s14
	s_mul_i32 s5, s13, s14
	s_add_nc_u64 s[16:17], s[18:19], s[16:17]
	s_mul_hi_u32 s2, s13, s14
	s_mul_hi_u32 s20, s13, s15
	s_add_co_u32 s5, s16, s5
	s_add_co_ci_u32 s18, s17, s2
	s_mul_i32 s14, s13, s15
	s_add_co_ci_u32 s15, s20, 0
	s_delay_alu instid0(SALU_CYCLE_1) | instskip(NEXT) | instid1(SALU_CYCLE_1)
	s_add_nc_u64 s[14:15], s[18:19], s[14:15]
	s_add_co_u32 s2, s12, s14
	s_cselect_b32 s5, -1, 0
	v_mul_hi_u32 v14, v6, s2
	s_cmp_lg_u32 s5, 0
	s_add_co_ci_u32 s18, s13, s15
	s_mov_b64 s[12:13], 0xffffffff
	v_mul_u64_e32 v[10:11], s[18:19], v[6:7]
	s_and_b64 s[12:13], s[2:3], s[12:13]
	v_mul_u64_e32 v[12:13], s[18:19], v[8:9]
	v_mul_u64_e32 v[4:5], s[12:13], v[8:9]
	s_delay_alu instid0(VALU_DEP_3) | instskip(NEXT) | instid1(VALU_DEP_1)
	v_add_nc_u64_e32 v[10:11], v[14:15], v[10:11]
	v_add_co_u32 v1, vcc_lo, v10, v4
	s_delay_alu instid0(VALU_DEP_2) | instskip(SKIP_1) | instid1(VALU_DEP_1)
	v_add_co_ci_u32_e32 v14, vcc_lo, v11, v5, vcc_lo
	v_add_co_ci_u32_e32 v13, vcc_lo, 0, v13, vcc_lo
	v_add_nc_u64_e32 v[4:5], v[14:15], v[12:13]
	s_delay_alu instid0(VALU_DEP_1) | instskip(NEXT) | instid1(VALU_DEP_1)
	v_mul_u64_e32 v[10:11], s[10:11], v[4:5]
	v_sub_nc_u32_e32 v1, v8, v11
	s_delay_alu instid0(VALU_DEP_2) | instskip(NEXT) | instid1(VALU_DEP_1)
	v_sub_co_u32 v6, vcc_lo, v6, v10
	v_sub_co_ci_u32_e64 v10, null, v8, v11, vcc_lo
	s_delay_alu instid0(VALU_DEP_3) | instskip(NEXT) | instid1(VALU_DEP_3)
	v_subrev_co_ci_u32_e64 v1, null, s11, v1, vcc_lo
	v_sub_co_u32 v7, s2, v6, s10
	s_delay_alu instid0(VALU_DEP_1) | instskip(NEXT) | instid1(VALU_DEP_2)
	v_subrev_co_ci_u32_e64 v1, null, 0, v1, s2
	v_cmp_le_u32_e32 vcc_lo, s10, v7
	v_cndmask_b32_e64 v7, 0, -1, vcc_lo
	s_delay_alu instid0(VALU_DEP_3)
	v_cmp_le_u32_e32 vcc_lo, s11, v1
	v_cndmask_b32_e64 v8, 0, -1, vcc_lo
	v_cmp_le_u32_e32 vcc_lo, s10, v6
	v_cndmask_b32_e64 v11, 0, -1, vcc_lo
	;; [unrolled: 2-line block ×3, first 2 shown]
	v_cmp_eq_u32_e32 vcc_lo, s11, v1
	v_cndmask_b32_e32 v1, v8, v7, vcc_lo
	v_cmp_eq_u32_e32 vcc_lo, s11, v10
	v_add_nc_u64_e32 v[6:7], 2, v[4:5]
	v_add_nc_u64_e32 v[8:9], 1, v[4:5]
	v_cndmask_b32_e32 v10, v12, v11, vcc_lo
	v_cmp_ne_u32_e32 vcc_lo, 0, v1
	s_delay_alu instid0(VALU_DEP_2) | instskip(NEXT) | instid1(VALU_DEP_4)
	v_cmp_ne_u32_e64 s2, 0, v10
	v_dual_cndmask_b32 v6, v8, v6 :: v_dual_cndmask_b32 v1, v9, v7
	s_delay_alu instid0(VALU_DEP_1) | instskip(SKIP_1) | instid1(VALU_DEP_2)
	v_dual_cndmask_b32 v4, v4, v6, s2 :: v_dual_cndmask_b32 v5, v5, v1, s2
	v_mov_b32_e32 v1, v0
	v_xor_b32_e32 v4, v4, v0
	s_delay_alu instid0(VALU_DEP_3) | instskip(NEXT) | instid1(VALU_DEP_1)
	v_xor_b32_e32 v5, v5, v0
	v_sub_nc_u64_e32 v[0:1], v[4:5], v[0:1]
.LBB9_3:
	s_and_not1_saveexec_b32 s2, s3
	s_cbranch_execz .LBB9_5
; %bb.4:
	v_cvt_f32_u32_e32 v0, s8
	s_sub_co_i32 s3, 0, s8
	s_delay_alu instid0(VALU_DEP_1) | instskip(SKIP_1) | instid1(TRANS32_DEP_1)
	v_rcp_iflag_f32_e32 v0, v0
	v_nop
	v_mul_f32_e32 v0, 0x4f7ffffe, v0
	s_delay_alu instid0(VALU_DEP_1) | instskip(NEXT) | instid1(VALU_DEP_1)
	v_cvt_u32_f32_e32 v0, v0
	v_mul_lo_u32 v1, s3, v0
	s_delay_alu instid0(VALU_DEP_1) | instskip(NEXT) | instid1(VALU_DEP_1)
	v_mul_hi_u32 v1, v0, v1
	v_add_nc_u32_e32 v0, v0, v1
	s_delay_alu instid0(VALU_DEP_1) | instskip(NEXT) | instid1(VALU_DEP_1)
	v_mul_hi_u32 v0, v2, v0
	v_mul_lo_u32 v1, v0, s8
	s_delay_alu instid0(VALU_DEP_1) | instskip(NEXT) | instid1(VALU_DEP_1)
	v_sub_nc_u32_e32 v1, v2, v1
	v_subrev_nc_u32_e32 v5, s8, v1
	v_cmp_le_u32_e32 vcc_lo, s8, v1
	s_delay_alu instid0(VALU_DEP_2) | instskip(NEXT) | instid1(VALU_DEP_1)
	v_dual_cndmask_b32 v1, v1, v5 :: v_dual_add_nc_u32 v4, 1, v0
	v_cndmask_b32_e32 v0, v0, v4, vcc_lo
	s_delay_alu instid0(VALU_DEP_2) | instskip(NEXT) | instid1(VALU_DEP_2)
	v_cmp_le_u32_e32 vcc_lo, s8, v1
	v_dual_mov_b32 v1, 0 :: v_dual_add_nc_u32 v4, 1, v0
	s_delay_alu instid0(VALU_DEP_1)
	v_cndmask_b32_e32 v0, v0, v4, vcc_lo
.LBB9_5:
	s_or_b32 exec_lo, exec_lo, s2
	s_clause 0x1
	s_load_b32 s16, s[0:1], 0x38
	s_load_b64 s[2:3], s[0:1], 0x8
	s_add_nc_u64 s[4:5], s[0:1], 56
	s_mov_b32 s17, -1
                                        ; implicit-def: $vgpr4
	s_wait_kmcnt 0x0
	s_add_co_i32 s10, s16, -1
	s_delay_alu instid0(SALU_CYCLE_1)
	s_cmp_lt_u32 s10, 2
	s_cbranch_scc1 .LBB9_15
; %bb.6:
	s_cmp_lg_u32 s16, 0
	s_mov_b32 s17, 0
	s_cbranch_scc0 .LBB9_11
; %bb.7:
	s_min_u32 s11, s10, 15
	s_delay_alu instid0(SALU_CYCLE_1)
	s_add_co_i32 s11, s11, 1
	s_cmp_eq_u32 s10, 2
	s_cbranch_scc1 .LBB9_12
; %bb.8:
	v_dual_mov_b32 v4, 0 :: v_dual_mov_b32 v5, v0
	s_and_b32 s10, s11, 28
	s_add_nc_u64 s[12:13], s[4:5], 0xc4
	s_mov_b32 s18, 0
	s_mov_b64 s[14:15], s[4:5]
.LBB9_9:                                ; =>This Inner Loop Header: Depth=1
	s_clause 0x1
	s_load_b256 s[20:27], s[14:15], 0x4
	s_load_b128 s[28:31], s[14:15], 0x24
	s_load_b128 s[36:39], s[12:13], 0x0
	s_add_co_i32 s18, s18, 4
	s_wait_xcnt 0x0
	s_add_nc_u64 s[14:15], s[14:15], 48
	s_cmp_lg_u32 s10, s18
	s_add_nc_u64 s[12:13], s[12:13], 16
	s_wait_kmcnt 0x0
	v_mul_hi_u32 v6, s21, v5
	s_delay_alu instid0(VALU_DEP_1) | instskip(NEXT) | instid1(VALU_DEP_1)
	v_add_nc_u32_e32 v6, v5, v6
	v_lshrrev_b32_e32 v6, s22, v6
	s_delay_alu instid0(VALU_DEP_1) | instskip(NEXT) | instid1(VALU_DEP_1)
	v_mul_hi_u32 v7, s24, v6
	v_add_nc_u32_e32 v7, v6, v7
	s_delay_alu instid0(VALU_DEP_1) | instskip(NEXT) | instid1(VALU_DEP_1)
	v_lshrrev_b32_e32 v7, s25, v7
	v_mul_hi_u32 v8, s27, v7
	s_delay_alu instid0(VALU_DEP_1) | instskip(SKIP_1) | instid1(VALU_DEP_2)
	v_add_nc_u32_e32 v8, v7, v8
	v_mul_lo_u32 v9, v6, s20
	v_lshrrev_b32_e32 v8, s28, v8
	s_delay_alu instid0(VALU_DEP_1) | instskip(NEXT) | instid1(VALU_DEP_3)
	v_mul_hi_u32 v10, s30, v8
	v_sub_nc_u32_e32 v5, v5, v9
	v_mul_lo_u32 v9, v7, s23
	s_delay_alu instid0(VALU_DEP_2) | instskip(NEXT) | instid1(VALU_DEP_2)
	v_mad_u32 v4, v5, s36, v4
	v_sub_nc_u32_e32 v5, v6, v9
	v_mul_lo_u32 v6, v8, s26
	v_add_nc_u32_e32 v9, v8, v10
	s_delay_alu instid0(VALU_DEP_2) | instskip(NEXT) | instid1(VALU_DEP_4)
	v_sub_nc_u32_e32 v6, v7, v6
	v_mad_u32 v4, v5, s37, v4
	s_delay_alu instid0(VALU_DEP_3) | instskip(NEXT) | instid1(VALU_DEP_1)
	v_lshrrev_b32_e32 v5, s31, v9
	v_mul_lo_u32 v7, v5, s29
	s_delay_alu instid0(VALU_DEP_3) | instskip(NEXT) | instid1(VALU_DEP_2)
	v_mad_u32 v4, v6, s38, v4
	v_sub_nc_u32_e32 v6, v8, v7
	s_delay_alu instid0(VALU_DEP_1)
	v_mad_u32 v4, v6, s39, v4
	s_cbranch_scc1 .LBB9_9
; %bb.10:
	s_and_b32 s14, s11, 3
	s_mov_b32 s11, 0
	s_cmp_eq_u32 s14, 0
	s_cbranch_scc0 .LBB9_13
	s_branch .LBB9_15
.LBB9_11:
	v_mov_b32_e32 v4, 0
	s_branch .LBB9_15
.LBB9_12:
	v_dual_mov_b32 v4, 0 :: v_dual_mov_b32 v5, v0
	s_mov_b32 s10, 0
	s_and_b32 s14, s11, 3
	s_mov_b32 s11, 0
	s_cmp_eq_u32 s14, 0
	s_cbranch_scc1 .LBB9_15
.LBB9_13:
	s_lshl_b32 s12, s10, 2
	s_mov_b32 s13, s11
	s_mul_u64 s[18:19], s[10:11], 12
	s_add_nc_u64 s[12:13], s[4:5], s[12:13]
	s_delay_alu instid0(SALU_CYCLE_1)
	s_add_nc_u64 s[10:11], s[12:13], 0xc4
	s_add_nc_u64 s[12:13], s[4:5], s[18:19]
.LBB9_14:                               ; =>This Inner Loop Header: Depth=1
	s_load_b96 s[20:22], s[12:13], 0x4
	s_load_b32 s15, s[10:11], 0x0
	s_add_co_i32 s14, s14, -1
	s_wait_xcnt 0x0
	s_add_nc_u64 s[12:13], s[12:13], 12
	s_cmp_lg_u32 s14, 0
	s_add_nc_u64 s[10:11], s[10:11], 4
	s_wait_kmcnt 0x0
	v_mul_hi_u32 v6, s21, v5
	s_delay_alu instid0(VALU_DEP_1) | instskip(NEXT) | instid1(VALU_DEP_1)
	v_add_nc_u32_e32 v6, v5, v6
	v_lshrrev_b32_e32 v6, s22, v6
	s_delay_alu instid0(VALU_DEP_1) | instskip(NEXT) | instid1(VALU_DEP_1)
	v_mul_lo_u32 v7, v6, s20
	v_sub_nc_u32_e32 v5, v5, v7
	s_delay_alu instid0(VALU_DEP_1)
	v_mad_u32 v4, v5, s15, v4
	v_mov_b32_e32 v5, v6
	s_cbranch_scc1 .LBB9_14
.LBB9_15:
	s_and_not1_b32 vcc_lo, exec_lo, s17
	s_cbranch_vccnz .LBB9_18
; %bb.16:
	s_clause 0x1
	s_load_b96 s[12:14], s[4:5], 0x4
	s_load_b32 s15, s[4:5], 0xc4
	v_dual_mov_b32 v5, 0 :: v_dual_mov_b32 v4, v0
	s_mov_b32 s11, 0
	s_cmp_lt_u32 s16, 2
	s_wait_kmcnt 0x0
	s_mov_b32 s10, s13
	s_delay_alu instid0(SALU_CYCLE_1) | instskip(NEXT) | instid1(VALU_DEP_1)
	v_mul_u64_e32 v[4:5], s[10:11], v[4:5]
	v_add_nc_u32_e32 v4, v5, v0
	s_delay_alu instid0(VALU_DEP_1) | instskip(NEXT) | instid1(VALU_DEP_1)
	v_lshrrev_b32_e32 v5, s14, v4
	v_mul_lo_u32 v4, v5, s12
	s_delay_alu instid0(VALU_DEP_1) | instskip(NEXT) | instid1(VALU_DEP_1)
	v_sub_nc_u32_e32 v4, v0, v4
	v_mul_lo_u32 v4, v4, s15
	s_cbranch_scc1 .LBB9_18
; %bb.17:
	s_clause 0x1
	s_load_b96 s[12:14], s[4:5], 0x10
	s_load_b32 s10, s[4:5], 0xc8
	s_wait_kmcnt 0x0
	v_mul_hi_u32 v6, s13, v5
	s_delay_alu instid0(VALU_DEP_1) | instskip(NEXT) | instid1(VALU_DEP_1)
	v_add_nc_u32_e32 v6, v5, v6
	v_lshrrev_b32_e32 v6, s14, v6
	s_delay_alu instid0(VALU_DEP_1) | instskip(NEXT) | instid1(VALU_DEP_1)
	v_mul_lo_u32 v6, v6, s12
	v_sub_nc_u32_e32 v5, v5, v6
	s_delay_alu instid0(VALU_DEP_1)
	v_mad_u32 v4, v5, s10, v4
.LBB9_18:
	s_delay_alu instid0(VALU_DEP_1)
	v_dual_add_nc_u32 v5, 1, v4 :: v_dual_mov_b32 v13, 0
	s_clause 0x1
	global_load_b64 v[8:9], v5, s[2:3] scale_offset
	global_load_b64 v[6:7], v4, s[2:3] scale_offset
	s_wait_xcnt 0x0
	v_mul_u64_e32 v[4:5], s[8:9], v[0:1]
	s_mov_b64 s[2:3], 0xd2511f53
	v_mov_b32_e32 v11, v13
	s_delay_alu instid0(VALU_DEP_2) | instskip(SKIP_1) | instid1(VALU_DEP_1)
	v_sub_nc_u64_e32 v[2:3], v[2:3], v[4:5]
	s_wait_loadcnt 0x1
	v_add_nc_u64_e32 v[4:5], v[8:9], v[2:3]
	s_wait_loadcnt 0x0
	s_delay_alu instid0(VALU_DEP_1) | instskip(SKIP_2) | instid1(VALU_DEP_3)
	v_dual_mov_b32 v12, v4 :: v_dual_bitop2_b32 v10, v5, v6 bitop3:0x14
	v_mul_lo_u32 v4, 0xd2511f53, v4
	v_add_nc_u32_e32 v5, 0xbb67ae85, v7
	v_mul_u64_e32 v[8:9], s[2:3], v[12:13]
	s_delay_alu instid0(VALU_DEP_4) | instskip(SKIP_3) | instid1(VALU_DEP_4)
	v_mul_u64_e32 v[14:15], s[2:3], v[10:11]
	s_mov_b64 s[2:3], 0xcd9e8d57
	v_add_nc_u32_e32 v11, 0x9e3779b9, v6
	v_add_nc_u32_e32 v14, 0x32370b8f, v7
	v_xor_b32_e32 v12, v9, v7
	s_delay_alu instid0(VALU_DEP_4) | instskip(NEXT) | instid1(VALU_DEP_2)
	v_xor3_b32 v4, v4, v5, v15
	v_mul_u64_e32 v[8:9], s[2:3], v[12:13]
	v_mul_lo_u32 v5, 0xcd9e8d57, v12
	s_delay_alu instid0(VALU_DEP_3) | instskip(SKIP_3) | instid1(VALU_DEP_2)
	v_mul_hi_u32 v8, 0xcd9e8d57, v4
	v_add_nc_u32_e32 v12, 0x3c6ef372, v6
	v_mul_lo_u32 v4, 0xcd9e8d57, v4
	s_mov_b64 s[2:3], 0x3df0000000000000
	v_xor3_b32 v5, v5, v12, v8
	v_mul_lo_u32 v8, 0xd2511f53, v10
	v_add_nc_u32_e32 v12, 0x76cf5d0a, v7
	v_xor_b32_e32 v9, v11, v9
	s_delay_alu instid0(VALU_DEP_4) | instskip(SKIP_1) | instid1(VALU_DEP_3)
	v_mul_hi_u32 v11, 0xd2511f53, v5
	v_mul_lo_u32 v5, 0xd2511f53, v5
	v_mul_hi_u32 v10, 0xd2511f53, v9
	v_mul_lo_u32 v9, 0xd2511f53, v9
	s_delay_alu instid0(VALU_DEP_2) | instskip(NEXT) | instid1(VALU_DEP_2)
	v_xor3_b32 v8, v8, v12, v10
	v_xor3_b32 v9, v9, v14, v11
	v_add_nc_u32_e32 v12, 0xdaa66d2b, v6
	v_add_nc_u32_e32 v14, 0x78dde6e4, v6
	s_delay_alu instid0(VALU_DEP_4) | instskip(SKIP_2) | instid1(VALU_DEP_3)
	v_mul_hi_u32 v10, 0xcd9e8d57, v8
	v_mul_lo_u32 v8, 0xcd9e8d57, v8
	v_mul_hi_u32 v11, 0xcd9e8d57, v9
	v_xor3_b32 v4, v4, v12, v10
	v_add_nc_u32_e32 v12, 0xed9eba14, v7
	s_delay_alu instid0(VALU_DEP_3) | instskip(SKIP_1) | instid1(VALU_DEP_4)
	v_xor3_b32 v8, v8, v14, v11
	v_add_nc_u32_e32 v14, 0xa9066899, v7
	v_mul_hi_u32 v10, 0xd2511f53, v4
	v_mul_lo_u32 v4, 0xd2511f53, v4
	s_delay_alu instid0(VALU_DEP_4) | instskip(NEXT) | instid1(VALU_DEP_3)
	v_mul_hi_u32 v11, 0xd2511f53, v8
	v_xor3_b32 v5, v5, v12, v10
	v_add_nc_u32_e32 v12, 0x1715609d, v6
	s_delay_alu instid0(VALU_DEP_3)
	v_xor3_b32 v10, v4, v14, v11
	v_mul_lo_u32 v4, 0xcd9e8d57, v9
	v_add_nc_u32_e32 v14, 0xb54cda56, v6
	v_mul_hi_u32 v9, 0xcd9e8d57, v5
	v_mul_lo_u32 v5, 0xcd9e8d57, v5
	v_mul_hi_u32 v11, 0xcd9e8d57, v10
	s_delay_alu instid0(VALU_DEP_3) | instskip(SKIP_1) | instid1(VALU_DEP_3)
	v_xor3_b32 v4, v4, v12, v9
	v_add_nc_u32_e32 v12, 0x1fd5c5a3, v7
	v_xor3_b32 v14, v5, v14, v11
	v_mul_lo_u32 v5, 0xd2511f53, v8
	v_add_nc_u32_e32 v11, 0x646e171e, v7
	v_mul_lo_u32 v8, 0xd2511f53, v4
	v_mul_hi_u32 v4, 0xd2511f53, v4
	v_mul_hi_u32 v9, 0xd2511f53, v14
	s_delay_alu instid0(VALU_DEP_2) | instskip(NEXT) | instid1(VALU_DEP_2)
	v_xor3_b32 v11, v5, v11, v4
	v_xor3_b32 v15, v8, v12, v9
	v_add_nc_u32_e32 v8, 0xf1bbcdc8, v6
	v_mul_lo_u32 v9, 0xcd9e8d57, v10
                                        ; implicit-def: $vgpr12
	s_delay_alu instid0(VALU_DEP_4) | instskip(NEXT) | instid1(VALU_DEP_4)
	v_mul_lo_u32 v4, 0xcd9e8d57, v11
	v_mul_hi_u32 v5, 0xcd9e8d57, v15
	v_mul_hi_u32 v10, 0xcd9e8d57, v11
	v_add_nc_u32_e32 v11, 0x5384540f, v6
	s_delay_alu instid0(VALU_DEP_3) | instskip(NEXT) | instid1(VALU_DEP_2)
	v_xor3_b32 v8, v4, v8, v5
	v_xor3_b32 v16, v9, v11, v10
	v_add_nc_u32_e32 v10, 0x96a522ad, v7
	s_delay_alu instid0(VALU_DEP_3) | instskip(NEXT) | instid1(VALU_DEP_3)
	v_mul_lo_u32 v4, 0xd2511f53, v8
	v_mul_lo_u32 v9, 0xd2511f53, v16
	v_mul_hi_u32 v8, 0xd2511f53, v8
	s_delay_alu instid0(VALU_DEP_3) | instskip(NEXT) | instid1(VALU_DEP_2)
	v_cvt_f64_u32_e32 v[4:5], v4
	v_xor3_b32 v8, v9, v10, v8
                                        ; implicit-def: $vgpr10_vgpr11
	s_delay_alu instid0(VALU_DEP_1) | instskip(NEXT) | instid1(VALU_DEP_3)
	v_cvt_f64_u32_e32 v[8:9], v8
	v_ldexp_f64 v[4:5], v[4:5], 0xffffffe0
	s_delay_alu instid0(VALU_DEP_1) | instskip(NEXT) | instid1(VALU_DEP_1)
	v_fmaak_f64 v[4:5], s[2:3], v[4:5], 0x3be00000
	v_fmac_f64_e32 v[4:5], 0x3df00000, v[8:9]
                                        ; implicit-def: $vgpr8_vgpr9
	s_delay_alu instid0(VALU_DEP_1) | instskip(NEXT) | instid1(VALU_DEP_1)
	v_mul_f64_e32 v[4:5], 0x401921fb54442d18, v[4:5]
	v_cmp_ngt_f64_e64 s2, 0x41d00000, |v[4:5]|
	s_and_saveexec_b32 s3, s2
	s_delay_alu instid0(SALU_CYCLE_1)
	s_xor_b32 s2, exec_lo, s3
	s_cbranch_execz .LBB9_20
; %bb.19:
	v_ldexp_f64 v[8:9], |v[4:5]|, 0xffffff80
	v_cmp_le_f64_e64 vcc_lo, 0x7b000000, |v[4:5]|
	v_trig_preop_f64 v[10:11], |v[4:5]|, 0
	v_and_b32_e32 v12, 0x7fffffff, v5
	v_trig_preop_f64 v[18:19], |v[4:5]|, 1
	v_trig_preop_f64 v[28:29], |v[4:5]|, 2
	s_mov_b64 s[4:5], 0x3ff921fb54442d18
	s_delay_alu instid0(VALU_DEP_3) | instskip(SKIP_1) | instid1(VALU_DEP_1)
	v_dual_mov_b32 v36, v13 :: v_dual_cndmask_b32 v9, v12, v9
	v_cndmask_b32_e32 v8, v4, v8, vcc_lo
	v_mul_f64_e32 v[20:21], v[10:11], v[8:9]
	v_mul_f64_e32 v[22:23], v[18:19], v[8:9]
	s_delay_alu instid0(VALU_DEP_2) | instskip(NEXT) | instid1(VALU_DEP_1)
	v_fma_f64 v[10:11], v[10:11], v[8:9], -v[20:21]
	v_add_f64_e32 v[24:25], v[22:23], v[10:11]
	s_delay_alu instid0(VALU_DEP_1) | instskip(SKIP_1) | instid1(VALU_DEP_2)
	v_add_f64_e64 v[26:27], v[24:25], -v[22:23]
	v_add_f64_e32 v[32:33], v[20:21], v[24:25]
	v_add_f64_e64 v[30:31], v[24:25], -v[26:27]
	v_add_f64_e64 v[10:11], v[10:11], -v[26:27]
	v_fma_f64 v[18:19], v[18:19], v[8:9], -v[22:23]
	s_delay_alu instid0(VALU_DEP_4) | instskip(SKIP_2) | instid1(VALU_DEP_3)
	v_ldexp_f64 v[26:27], v[32:33], -2
	v_mul_f64_e32 v[34:35], v[28:29], v[8:9]
	v_add_f64_e64 v[22:23], v[22:23], -v[30:31]
	v_cmp_neq_f64_e64 vcc_lo, 0x7ff00000, |v[26:27]|
	s_delay_alu instid0(VALU_DEP_3) | instskip(SKIP_1) | instid1(VALU_DEP_4)
	v_add_f64_e32 v[30:31], v[34:35], v[18:19]
	v_fma_f64 v[8:9], v[28:29], v[8:9], -v[34:35]
	v_add_f64_e32 v[10:11], v[10:11], v[22:23]
	v_fract_f64_e32 v[22:23], v[26:27]
	s_delay_alu instid0(VALU_DEP_1) | instskip(NEXT) | instid1(VALU_DEP_1)
	v_ldexp_f64 v[22:23], v[22:23], 2
	v_dual_add_f64 v[20:21], v[32:33], -v[20:21] :: v_dual_cndmask_b32 v23, 0, v23, vcc_lo
	s_delay_alu instid0(VALU_DEP_1) | instskip(SKIP_1) | instid1(VALU_DEP_1)
	v_dual_add_f64 v[20:21], v[24:25], -v[20:21] :: v_dual_cndmask_b32 v22, 0, v22, vcc_lo
	v_add_f64_e32 v[24:25], v[30:31], v[10:11]
	v_add_f64_e32 v[26:27], v[20:21], v[24:25]
	s_delay_alu instid0(VALU_DEP_1) | instskip(SKIP_1) | instid1(VALU_DEP_2)
	v_add_f64_e32 v[32:33], v[26:27], v[22:23]
	v_add_f64_e64 v[20:21], v[26:27], -v[20:21]
	v_cmp_gt_f64_e32 vcc_lo, 0, v[32:33]
	v_add_f64_e64 v[32:33], v[30:31], -v[34:35]
	s_delay_alu instid0(VALU_DEP_3) | instskip(SKIP_1) | instid1(VALU_DEP_3)
	v_add_f64_e64 v[20:21], v[24:25], -v[20:21]
	v_cndmask_b32_e64 v37, 0, 0x40100000, vcc_lo
	v_add_f64_e64 v[40:41], v[30:31], -v[32:33]
	v_add_f64_e64 v[18:19], v[18:19], -v[32:33]
	s_delay_alu instid0(VALU_DEP_3) | instskip(SKIP_1) | instid1(VALU_DEP_4)
	v_add_f64_e32 v[22:23], v[22:23], v[36:37]
	v_add_f64_e64 v[36:37], v[24:25], -v[30:31]
	v_add_f64_e64 v[32:33], v[34:35], -v[40:41]
	s_delay_alu instid0(VALU_DEP_3) | instskip(NEXT) | instid1(VALU_DEP_3)
	v_add_f64_e32 v[38:39], v[26:27], v[22:23]
	v_add_f64_e64 v[42:43], v[24:25], -v[36:37]
	v_add_f64_e64 v[10:11], v[10:11], -v[36:37]
	s_delay_alu instid0(VALU_DEP_4) | instskip(NEXT) | instid1(VALU_DEP_4)
	v_add_f64_e32 v[18:19], v[18:19], v[32:33]
	v_cvt_i32_f64_e32 v12, v[38:39]
	s_delay_alu instid0(VALU_DEP_4) | instskip(NEXT) | instid1(VALU_DEP_2)
	v_add_f64_e64 v[30:31], v[30:31], -v[42:43]
	v_cvt_f64_i32_e32 v[36:37], v12
	s_delay_alu instid0(VALU_DEP_2) | instskip(NEXT) | instid1(VALU_DEP_2)
	v_add_f64_e32 v[10:11], v[10:11], v[30:31]
	v_add_f64_e64 v[22:23], v[22:23], -v[36:37]
	s_delay_alu instid0(VALU_DEP_2) | instskip(NEXT) | instid1(VALU_DEP_2)
	v_add_f64_e32 v[10:11], v[18:19], v[10:11]
	v_add_f64_e32 v[18:19], v[26:27], v[22:23]
	s_delay_alu instid0(VALU_DEP_2) | instskip(NEXT) | instid1(VALU_DEP_2)
	v_add_f64_e32 v[8:9], v[8:9], v[10:11]
	v_add_f64_e64 v[10:11], v[18:19], -v[22:23]
	v_cmp_le_f64_e32 vcc_lo, 0.5, v[18:19]
	s_delay_alu instid0(VALU_DEP_3) | instskip(NEXT) | instid1(VALU_DEP_3)
	v_add_f64_e32 v[8:9], v[20:21], v[8:9]
	v_dual_add_f64 v[10:11], v[26:27], -v[10:11] :: v_dual_mov_b32 v20, v13
	v_cndmask_b32_e64 v21, 0, 0x3ff00000, vcc_lo
	v_add_co_ci_u32_e64 v12, null, 0, v12, vcc_lo
	s_delay_alu instid0(VALU_DEP_3) | instskip(NEXT) | instid1(VALU_DEP_3)
	v_add_f64_e32 v[8:9], v[8:9], v[10:11]
	v_add_f64_e64 v[10:11], v[18:19], -v[20:21]
	s_delay_alu instid0(VALU_DEP_1) | instskip(NEXT) | instid1(VALU_DEP_1)
	v_add_f64_e32 v[18:19], v[10:11], v[8:9]
	v_mul_f64_e32 v[20:21], 0x3ff921fb54442d18, v[18:19]
	v_add_f64_e64 v[10:11], v[18:19], -v[10:11]
	s_delay_alu instid0(VALU_DEP_2) | instskip(NEXT) | instid1(VALU_DEP_2)
	v_fma_f64 v[22:23], v[18:19], s[4:5], -v[20:21]
	v_add_f64_e64 v[8:9], v[8:9], -v[10:11]
	s_delay_alu instid0(VALU_DEP_2) | instskip(NEXT) | instid1(VALU_DEP_1)
	v_fmamk_f64 v[10:11], v[18:19], 0x3c91a62633145c07, v[22:23]
	v_fmac_f64_e32 v[10:11], 0x3ff921fb54442d18, v[8:9]
	s_delay_alu instid0(VALU_DEP_1) | instskip(NEXT) | instid1(VALU_DEP_1)
	v_add_f64_e32 v[8:9], v[20:21], v[10:11]
	v_add_f64_e64 v[18:19], v[8:9], -v[20:21]
	s_delay_alu instid0(VALU_DEP_1)
	v_add_f64_e64 v[10:11], v[10:11], -v[18:19]
.LBB9_20:
	s_or_saveexec_b32 s2, s2
	s_load_b128 s[8:11], s[0:1], 0x28
	s_xor_b32 exec_lo, exec_lo, s2
	s_cbranch_execz .LBB9_22
; %bb.21:
	s_mov_b64 s[4:5], 0x3fe45f306dc9c883
	s_delay_alu instid0(SALU_CYCLE_1) | instskip(SKIP_1) | instid1(VALU_DEP_1)
	v_mul_f64_e64 v[8:9], |v[4:5]|, s[4:5]
	s_mov_b64 s[4:5], 0xbff921fb54442d18
	v_rndne_f64_e32 v[12:13], v[8:9]
	s_delay_alu instid0(VALU_DEP_1) | instskip(SKIP_1) | instid1(VALU_DEP_2)
	v_fma_f64 v[8:9], v[12:13], s[4:5], |v[4:5]|
	v_mul_f64_e32 v[10:11], 0xbc91a62633145c00, v[12:13]
	v_fmamk_f64 v[22:23], v[12:13], 0xbc91a62633145c00, v[8:9]
	s_delay_alu instid0(VALU_DEP_2) | instskip(NEXT) | instid1(VALU_DEP_1)
	v_add_f64_e32 v[18:19], v[8:9], v[10:11]
	v_add_f64_e64 v[20:21], v[8:9], -v[18:19]
	s_delay_alu instid0(VALU_DEP_3) | instskip(NEXT) | instid1(VALU_DEP_2)
	v_add_f64_e64 v[8:9], v[18:19], -v[22:23]
	v_add_f64_e32 v[18:19], v[20:21], v[10:11]
	v_fmamk_f64 v[10:11], v[12:13], 0x3c91a62633145c00, v[10:11]
	s_delay_alu instid0(VALU_DEP_2) | instskip(NEXT) | instid1(VALU_DEP_1)
	v_add_f64_e32 v[8:9], v[8:9], v[18:19]
	v_add_f64_e64 v[8:9], v[8:9], -v[10:11]
	s_delay_alu instid0(VALU_DEP_1) | instskip(SKIP_1) | instid1(VALU_DEP_2)
	v_fmamk_f64 v[10:11], v[12:13], 0xb97b839a252049c0, v[8:9]
	v_cvt_i32_f64_e32 v12, v[12:13]
	v_add_f64_e32 v[8:9], v[22:23], v[10:11]
	s_delay_alu instid0(VALU_DEP_1) | instskip(NEXT) | instid1(VALU_DEP_1)
	v_add_f64_e64 v[18:19], v[8:9], -v[22:23]
	v_add_f64_e64 v[10:11], v[10:11], -v[18:19]
.LBB9_22:
	s_or_b32 exec_lo, exec_lo, s2
	v_mul_lo_u32 v13, 0xd2511f53, v14
	v_mul_hi_u32 v14, 0xd2511f53, v16
	v_add_nc_u32_e32 v7, 0xdb3d7428, v7
	s_mov_b64 s[2:3], 0x3df0000000000000
	s_load_b64 s[4:5], s[0:1], 0x0
	s_bitcmp1_b32 s6, 0
	s_wait_xcnt 0x0
	s_mov_b32 s1, 0
	s_delay_alu instid0(VALU_DEP_2) | instskip(NEXT) | instid1(VALU_DEP_1)
	v_xor3_b32 v7, v13, v7, v14
	v_mul_lo_u32 v13, 0xcd9e8d57, v7
	v_mul_hi_u32 v14, 0xcd9e8d57, v7
	s_delay_alu instid0(VALU_DEP_2) | instskip(SKIP_2) | instid1(VALU_DEP_1)
	v_cvt_f64_u32_e32 v[16:17], v13
	v_mul_lo_u32 v13, 0xcd9e8d57, v15
	v_add_nc_u32_e32 v15, 0x8ff34781, v6
	v_xor3_b32 v13, v13, v15, v14
	s_delay_alu instid0(VALU_DEP_1) | instskip(SKIP_1) | instid1(VALU_DEP_1)
	v_cvt_f64_u32_e32 v[14:15], v13
	v_ldexp_f64 v[6:7], v[16:17], 0xffffffe0
	v_fmaak_f64 v[6:7], s[2:3], v[6:7], 0x3be00000
	s_mov_b64 s[2:3], 0x3fe5555555555555
	s_delay_alu instid0(VALU_DEP_1) | instskip(NEXT) | instid1(VALU_DEP_1)
	v_fmac_f64_e32 v[6:7], 0x3df00000, v[14:15]
	v_frexp_mant_f64_e32 v[14:15], v[6:7]
	v_frexp_exp_i32_f64_e32 v13, v[6:7]
	s_delay_alu instid0(VALU_DEP_2) | instskip(SKIP_2) | instid1(VALU_DEP_3)
	v_cmp_gt_f64_e32 vcc_lo, s[2:3], v[14:15]
	s_mov_b64 s[2:3], 0x3fc3ab76bf559e2b
	v_cndmask_b32_e64 v16, 0, 1, vcc_lo
	v_subrev_co_ci_u32_e64 v13, null, 0, v13, vcc_lo
	v_cmp_class_f64_e64 vcc_lo, v[6:7], 0x204
	s_delay_alu instid0(VALU_DEP_3) | instskip(NEXT) | instid1(VALU_DEP_1)
	v_ldexp_f64 v[14:15], v[14:15], v16
	v_add_f64_e32 v[16:17], 1.0, v[14:15]
	v_add_f64_e32 v[22:23], -1.0, v[14:15]
	s_delay_alu instid0(VALU_DEP_2) | instskip(SKIP_1) | instid1(VALU_DEP_1)
	v_rcp_f64_e32 v[18:19], v[16:17]
	v_add_f64_e32 v[24:25], -1.0, v[16:17]
	v_add_f64_e64 v[14:15], v[14:15], -v[24:25]
	s_delay_alu instid0(TRANS32_DEP_1) | instskip(NEXT) | instid1(VALU_DEP_1)
	v_fma_f64 v[20:21], -v[16:17], v[18:19], 1.0
	v_fmac_f64_e32 v[18:19], v[20:21], v[18:19]
	s_delay_alu instid0(VALU_DEP_1) | instskip(NEXT) | instid1(VALU_DEP_1)
	v_fma_f64 v[20:21], -v[16:17], v[18:19], 1.0
	v_fmac_f64_e32 v[18:19], v[20:21], v[18:19]
	s_delay_alu instid0(VALU_DEP_1) | instskip(NEXT) | instid1(VALU_DEP_1)
	v_mul_f64_e32 v[20:21], v[22:23], v[18:19]
	v_mul_f64_e32 v[26:27], v[16:17], v[20:21]
	s_delay_alu instid0(VALU_DEP_1) | instskip(NEXT) | instid1(VALU_DEP_1)
	v_fma_f64 v[16:17], v[20:21], v[16:17], -v[26:27]
	v_fmac_f64_e32 v[16:17], v[20:21], v[14:15]
	s_delay_alu instid0(VALU_DEP_1) | instskip(NEXT) | instid1(VALU_DEP_1)
	v_add_f64_e32 v[14:15], v[26:27], v[16:17]
	v_add_f64_e64 v[24:25], v[22:23], -v[14:15]
	v_add_f64_e64 v[26:27], v[14:15], -v[26:27]
	s_delay_alu instid0(VALU_DEP_2) | instskip(NEXT) | instid1(VALU_DEP_2)
	v_add_f64_e64 v[22:23], v[22:23], -v[24:25]
	v_add_f64_e64 v[16:17], v[26:27], -v[16:17]
	s_delay_alu instid0(VALU_DEP_2) | instskip(NEXT) | instid1(VALU_DEP_1)
	v_add_f64_e64 v[14:15], v[22:23], -v[14:15]
	v_add_f64_e32 v[14:15], v[16:17], v[14:15]
	s_delay_alu instid0(VALU_DEP_1) | instskip(NEXT) | instid1(VALU_DEP_1)
	v_add_f64_e32 v[14:15], v[24:25], v[14:15]
	v_mul_f64_e32 v[14:15], v[18:19], v[14:15]
	s_delay_alu instid0(VALU_DEP_1) | instskip(NEXT) | instid1(VALU_DEP_1)
	v_add_f64_e32 v[16:17], v[20:21], v[14:15]
	v_mul_f64_e32 v[18:19], v[16:17], v[16:17]
	s_delay_alu instid0(VALU_DEP_1) | instskip(SKIP_2) | instid1(VALU_DEP_2)
	v_fmaak_f64 v[22:23], s[2:3], v[18:19], 0x3fc385386b47b09a
	v_mul_f64_e32 v[24:25], v[16:17], v[18:19]
	s_mov_b64 s[2:3], 0x3fe62e42fefa39ef
	v_fmaak_f64 v[22:23], v[18:19], v[22:23], 0x3fc7474dd7f4df2e
	s_delay_alu instid0(VALU_DEP_1) | instskip(NEXT) | instid1(VALU_DEP_1)
	v_fmaak_f64 v[22:23], v[18:19], v[22:23], 0x3fcc71c016291751
	v_fmaak_f64 v[22:23], v[18:19], v[22:23], 0x3fd249249b27acf1
	s_delay_alu instid0(VALU_DEP_1) | instskip(NEXT) | instid1(VALU_DEP_1)
	v_fmaak_f64 v[22:23], v[18:19], v[22:23], 0x3fd99999998ef7b6
	v_fmaak_f64 v[18:19], v[18:19], v[22:23], 0x3fe5555555555780
	v_ldexp_f64 v[22:23], v[16:17], 1
	v_add_f64_e64 v[16:17], v[16:17], -v[20:21]
	s_delay_alu instid0(VALU_DEP_3) | instskip(SKIP_1) | instid1(VALU_DEP_3)
	v_mul_f64_e32 v[18:19], v[24:25], v[18:19]
	v_cvt_f64_i32_e32 v[24:25], v13
	v_add_f64_e64 v[14:15], v[14:15], -v[16:17]
	s_delay_alu instid0(VALU_DEP_3) | instskip(NEXT) | instid1(VALU_DEP_2)
	v_add_f64_e32 v[20:21], v[22:23], v[18:19]
	v_ldexp_f64 v[14:15], v[14:15], 1
	s_delay_alu instid0(VALU_DEP_2) | instskip(SKIP_1) | instid1(VALU_DEP_2)
	v_add_f64_e64 v[16:17], v[20:21], -v[22:23]
	v_mul_f64_e32 v[22:23], 0x3fe62e42fefa39ef, v[24:25]
	v_add_f64_e64 v[16:17], v[18:19], -v[16:17]
	s_delay_alu instid0(VALU_DEP_2) | instskip(SKIP_1) | instid1(VALU_DEP_2)
	v_fma_f64 v[18:19], v[24:25], s[2:3], -v[22:23]
	s_mov_b64 s[2:3], 0x3de5e0b2f9a43bb8
	v_add_f64_e32 v[14:15], v[14:15], v[16:17]
	s_delay_alu instid0(VALU_DEP_2) | instskip(NEXT) | instid1(VALU_DEP_1)
	v_fmamk_f64 v[16:17], v[24:25], 0x3c7abc9e3b39803f, v[18:19]
	v_add_f64_e32 v[18:19], v[22:23], v[16:17]
	s_delay_alu instid0(VALU_DEP_3) | instskip(NEXT) | instid1(VALU_DEP_2)
	v_add_f64_e32 v[24:25], v[20:21], v[14:15]
	v_add_f64_e64 v[22:23], v[18:19], -v[22:23]
	s_delay_alu instid0(VALU_DEP_2) | instskip(SKIP_1) | instid1(VALU_DEP_3)
	v_add_f64_e32 v[26:27], v[18:19], v[24:25]
	v_add_f64_e64 v[20:21], v[24:25], -v[20:21]
	v_add_f64_e64 v[16:17], v[16:17], -v[22:23]
	s_delay_alu instid0(VALU_DEP_3) | instskip(NEXT) | instid1(VALU_DEP_3)
	v_add_f64_e64 v[28:29], v[26:27], -v[18:19]
	v_add_f64_e64 v[14:15], v[14:15], -v[20:21]
	s_delay_alu instid0(VALU_DEP_2) | instskip(SKIP_1) | instid1(VALU_DEP_3)
	v_add_f64_e64 v[30:31], v[26:27], -v[28:29]
	v_add_f64_e64 v[20:21], v[24:25], -v[28:29]
	v_add_f64_e32 v[22:23], v[16:17], v[14:15]
	v_mul_f64_e32 v[28:29], 0.5, v[10:11]
	s_delay_alu instid0(VALU_DEP_4) | instskip(NEXT) | instid1(VALU_DEP_1)
	v_add_f64_e64 v[18:19], v[18:19], -v[30:31]
	v_add_f64_e32 v[18:19], v[20:21], v[18:19]
	s_delay_alu instid0(VALU_DEP_4) | instskip(NEXT) | instid1(VALU_DEP_2)
	v_add_f64_e64 v[20:21], v[22:23], -v[16:17]
	v_add_f64_e32 v[18:19], v[22:23], v[18:19]
	s_delay_alu instid0(VALU_DEP_2) | instskip(SKIP_1) | instid1(VALU_DEP_3)
	v_add_f64_e64 v[22:23], v[22:23], -v[20:21]
	v_add_f64_e64 v[14:15], v[14:15], -v[20:21]
	v_add_f64_e32 v[24:25], v[26:27], v[18:19]
	s_delay_alu instid0(VALU_DEP_3) | instskip(NEXT) | instid1(VALU_DEP_2)
	v_add_f64_e64 v[16:17], v[16:17], -v[22:23]
	v_add_f64_e64 v[20:21], v[24:25], -v[26:27]
	s_delay_alu instid0(VALU_DEP_2) | instskip(NEXT) | instid1(VALU_DEP_2)
	v_add_f64_e32 v[14:15], v[14:15], v[16:17]
	v_add_f64_e64 v[16:17], v[18:19], -v[20:21]
	s_delay_alu instid0(VALU_DEP_1) | instskip(SKIP_1) | instid1(VALU_DEP_2)
	v_add_f64_e32 v[14:15], v[14:15], v[16:17]
	v_mul_f64_e32 v[16:17], v[8:9], v[8:9]
	v_add_f64_e32 v[14:15], v[24:25], v[14:15]
	s_delay_alu instid0(VALU_DEP_2) | instskip(SKIP_3) | instid1(VALU_DEP_4)
	v_mul_f64_e32 v[18:19], 0.5, v[16:17]
	v_mul_f64_e64 v[30:31], v[8:9], -v[16:17]
	v_fmaak_f64 v[32:33], s[2:3], v[16:17], 0xbe5ae600b42fdfa7
	s_mov_b64 s[2:3], 0xbda907db46cc5e42
	v_dual_cndmask_b32 v15, v15, v7 :: v_dual_cndmask_b32 v14, v14, v6
	v_cmp_ngt_f64_e32 vcc_lo, 0, v[6:7]
	v_add_f64_e64 v[24:25], -v[18:19], 1.0
	s_delay_alu instid0(VALU_DEP_3) | instskip(NEXT) | instid1(VALU_DEP_2)
	v_mul_f64_e32 v[14:15], -2.0, v[14:15]
	v_add_f64_e64 v[26:27], -v[24:25], 1.0
	s_delay_alu instid0(VALU_DEP_2) | instskip(SKIP_1) | instid1(VALU_DEP_3)
	v_cndmask_b32_e32 v13, 0x7ff80000, v15, vcc_lo
	v_cmp_nge_f64_e32 vcc_lo, 0, v[6:7]
	v_add_f64_e64 v[18:19], v[26:27], -v[18:19]
	v_fmaak_f64 v[26:27], v[16:17], v[32:33], 0x3ec71de3796cde01
	v_dual_mul_f64 v[32:33], v[16:17], v[16:17] :: v_dual_cndmask_b32 v14, 0, v14, vcc_lo
	v_cmp_neq_f64_e32 vcc_lo, 0, v[6:7]
	s_delay_alu instid0(VALU_DEP_3) | instskip(NEXT) | instid1(VALU_DEP_1)
	v_fmaak_f64 v[26:27], v[16:17], v[26:27], 0xbf2a01a019e83e5c
	v_fmaak_f64 v[26:27], v[16:17], v[26:27], 0x3f81111111110bb3
	s_delay_alu instid0(VALU_DEP_1) | instskip(SKIP_4) | instid1(VALU_DEP_1)
	v_fmac_f64_e32 v[28:29], v[30:31], v[26:27]
	v_fmaak_f64 v[26:27], s[2:3], v[16:17], 0x3e21eeb69037ab78
	v_cmp_class_f64_e64 s2, v[4:5], 0x1f8
	v_dual_fma_f64 v[18:19], v[8:9], -v[10:11], v[18:19] :: v_dual_lshlrev_b32 v4, 30, v12
	v_cndmask_b32_e32 v15, 0x7ff00000, v13, vcc_lo
	v_cmp_gt_f64_e32 vcc_lo, 0x10000000, v[14:15]
	v_fma_f64 v[10:11], v[16:17], v[28:29], -v[10:11]
	v_cndmask_b32_e64 v6, 0, 0x100, vcc_lo
	s_delay_alu instid0(VALU_DEP_1) | instskip(NEXT) | instid1(VALU_DEP_1)
	v_ldexp_f64 v[14:15], v[14:15], v6
	v_rsq_f64_e32 v[6:7], v[14:15]
	v_cmp_class_f64_e64 s3, v[14:15], 0x260
	s_delay_alu instid0(TRANS32_DEP_1) | instskip(SKIP_1) | instid1(VALU_DEP_1)
	v_mul_f64_e32 v[20:21], v[14:15], v[6:7]
	v_mul_f64_e32 v[22:23], 0.5, v[6:7]
	v_fma_f64 v[6:7], -v[22:23], v[20:21], 0.5
	s_delay_alu instid0(VALU_DEP_1) | instskip(SKIP_1) | instid1(VALU_DEP_2)
	v_fmac_f64_e32 v[20:21], v[20:21], v[6:7]
	v_fmac_f64_e32 v[22:23], v[22:23], v[6:7]
	v_fma_f64 v[6:7], -v[20:21], v[20:21], v[14:15]
	s_delay_alu instid0(VALU_DEP_1) | instskip(SKIP_1) | instid1(VALU_DEP_1)
	v_fmac_f64_e32 v[20:21], v[6:7], v[22:23]
	v_fmaak_f64 v[6:7], v[16:17], v[26:27], 0xbe927e4fa17f65f6
	v_fmaak_f64 v[6:7], v[16:17], v[6:7], 0x3efa01a019f4ec90
	s_delay_alu instid0(VALU_DEP_1) | instskip(NEXT) | instid1(VALU_DEP_1)
	v_fmaak_f64 v[6:7], v[16:17], v[6:7], 0xbf56c16c16c16967
	v_fmaak_f64 v[6:7], v[16:17], v[6:7], 0x3fa5555555555555
	s_delay_alu instid0(VALU_DEP_1) | instskip(SKIP_4) | instid1(VALU_DEP_3)
	v_fmac_f64_e32 v[18:19], v[32:33], v[6:7]
	v_fmamk_f64 v[6:7], v[30:31], 0xbfc5555555555555, v[10:11]
	v_and_b32_e32 v10, 1, v12
	v_fma_f64 v[16:17], -v[20:21], v[20:21], v[14:15]
	v_cndmask_b32_e64 v11, 0, 0xffffff80, vcc_lo
	v_cmp_eq_u32_e32 vcc_lo, 0, v10
	v_add_f64_e64 v[6:7], v[8:9], -v[6:7]
	v_add_f64_e32 v[8:9], v[24:25], v[18:19]
	v_fmac_f64_e32 v[20:21], v[16:17], v[22:23]
	s_delay_alu instid0(VALU_DEP_3) | instskip(NEXT) | instid1(VALU_DEP_1)
	v_xor_b32_e32 v16, 0x80000000, v7
	v_dual_cndmask_b32 v12, v16, v9 :: v_dual_cndmask_b32 v13, v6, v8
	v_lshlrev_b64_e32 v[16:17], 1, v[2:3]
	s_delay_alu instid0(VALU_DEP_4) | instskip(NEXT) | instid1(VALU_DEP_3)
	v_ldexp_f64 v[10:11], v[20:21], v11
	v_bitop3_b32 v19, v12, v4, 0x80000000 bitop3:0x78
	s_delay_alu instid0(VALU_DEP_4) | instskip(NEXT) | instid1(VALU_DEP_2)
	v_cndmask_b32_e64 v18, 0, v13, s2
	v_cndmask_b32_e64 v19, 0x7ff80000, v19, s2
	s_delay_alu instid0(VALU_DEP_4) | instskip(SKIP_3) | instid1(VALU_DEP_2)
	v_dual_cndmask_b32 v13, v11, v15, s3 :: v_dual_cndmask_b32 v12, v10, v14, s3
	v_mad_nc_u64_u32 v[10:11], v0, s6, v[16:17]
	s_cselect_b32 s3, -1, 0
	s_lshr_b32 s0, s7, 31
	v_mul_f64_e32 v[14:15], v[12:13], v[18:19]
	s_add_nc_u64 s[12:13], s[6:7], s[0:1]
	s_delay_alu instid0(SALU_CYCLE_1) | instskip(NEXT) | instid1(SALU_CYCLE_1)
	s_ashr_i64 s[12:13], s[12:13], 1
	v_cmp_le_i64_e64 s0, s[12:13], v[2:3]
	s_delay_alu instid0(VALU_DEP_3) | instskip(SKIP_1) | instid1(VALU_DEP_1)
	v_mad_u32 v1, v1, s6, v11
	s_or_b32 s0, s3, s0
	v_mad_u32 v11, v0, s7, v1
	s_and_saveexec_b32 s3, s0
	s_delay_alu instid0(SALU_CYCLE_1)
	s_xor_b32 s3, exec_lo, s3
	s_cbranch_execnz .LBB9_27
; %bb.23:
	s_and_not1_saveexec_b32 s0, s3
	s_cbranch_execnz .LBB9_30
.LBB9_24:
	s_or_b32 exec_lo, exec_lo, s0
	s_delay_alu instid0(SALU_CYCLE_1)
	s_and_b32 exec_lo, exec_lo, s1
	s_cbranch_execz .LBB9_26
.LBB9_25:
	v_dual_cndmask_b32 v0, v9, v7, vcc_lo :: v_dual_bitop2_b32 v1, v4, v5 bitop3:0x14
	v_cndmask_b32_e32 v2, v8, v6, vcc_lo
	s_delay_alu instid0(VALU_DEP_2) | instskip(NEXT) | instid1(VALU_DEP_2)
	v_bitop3_b32 v1, v0, v1, 0x80000000 bitop3:0x78
	v_cndmask_b32_e64 v0, 0, v2, s2
	s_wait_kmcnt 0x0
	v_lshl_add_u64 v[2:3], v[10:11], 3, s[4:5]
	s_delay_alu instid0(VALU_DEP_3) | instskip(NEXT) | instid1(VALU_DEP_1)
	v_cndmask_b32_e64 v1, 0x7ff80000, v1, s2
	v_mul_f64_e32 v[0:1], v[12:13], v[0:1]
	s_delay_alu instid0(VALU_DEP_1)
	v_fma_f64 v[0:1], s[10:11], v[0:1], s[8:9]
	global_store_b64 v[2:3], v[0:1], off offset:8
.LBB9_26:
	s_endpgm
.LBB9_27:
	s_mov_b32 s12, 0
	s_mov_b32 s1, exec_lo
	v_cmpx_gt_i64_e64 s[6:7], v[16:17]
	s_cbranch_execz .LBB9_29
; %bb.28:
	s_wait_kmcnt 0x0
	v_fma_f64 v[0:1], s[10:11], v[14:15], s[8:9]
	v_or_b32_e32 v16, 1, v16
	v_lshl_add_u64 v[2:3], v[10:11], 3, s[4:5]
	s_delay_alu instid0(VALU_DEP_2)
	v_cmp_gt_u64_e64 s0, s[6:7], v[16:17]
	s_and_b32 s12, s0, exec_lo
	global_store_b64 v[2:3], v[0:1], off
.LBB9_29:
	s_wait_xcnt 0x0
	s_or_b32 exec_lo, exec_lo, s1
	s_delay_alu instid0(SALU_CYCLE_1)
	s_and_b32 s1, s12, exec_lo
                                        ; implicit-def: $vgpr14_vgpr15
	s_and_not1_saveexec_b32 s0, s3
	s_cbranch_execz .LBB9_24
.LBB9_30:
	s_wait_kmcnt 0x0
	v_fma_f64 v[0:1], s[10:11], v[14:15], s[8:9]
	s_delay_alu instid0(VALU_DEP_2) | instskip(SKIP_4) | instid1(SALU_CYCLE_1)
	v_lshl_add_u64 v[2:3], v[10:11], 3, s[4:5]
	s_or_b32 s1, s1, exec_lo
	global_store_b64 v[2:3], v[0:1], off
	s_wait_xcnt 0x0
	s_or_b32 exec_lo, exec_lo, s0
	s_and_b32 exec_lo, exec_lo, s1
	s_cbranch_execnz .LBB9_25
	s_branch .LBB9_26
	.section	.rodata,"a",@progbits
	.p2align	6, 0x0
	.amdhsa_kernel _ZN2at6native12_GLOBAL__N_123philox_multi_key_kernelIdZZZZNS0_20_philox_normal_cuda_ERNS_6TensorERKS3_ddENKUlvE_clEvENKUlvE_clEvENKUlvE_clEvEUlmmE_ZZZNS0_20_philox_normal_cuda_ES4_S6_ddENKS7_clEvENKS8_clEvEUldE_EEvPT_PKmllT0_T1_16OffsetCalculatorILi1EjLb0EE
		.amdhsa_group_segment_fixed_size 0
		.amdhsa_private_segment_fixed_size 0
		.amdhsa_kernarg_size 576
		.amdhsa_user_sgpr_count 2
		.amdhsa_user_sgpr_dispatch_ptr 0
		.amdhsa_user_sgpr_queue_ptr 0
		.amdhsa_user_sgpr_kernarg_segment_ptr 1
		.amdhsa_user_sgpr_dispatch_id 0
		.amdhsa_user_sgpr_kernarg_preload_length 0
		.amdhsa_user_sgpr_kernarg_preload_offset 0
		.amdhsa_user_sgpr_private_segment_size 0
		.amdhsa_wavefront_size32 1
		.amdhsa_uses_dynamic_stack 0
		.amdhsa_enable_private_segment 0
		.amdhsa_system_sgpr_workgroup_id_x 1
		.amdhsa_system_sgpr_workgroup_id_y 0
		.amdhsa_system_sgpr_workgroup_id_z 0
		.amdhsa_system_sgpr_workgroup_info 0
		.amdhsa_system_vgpr_workitem_id 0
		.amdhsa_next_free_vgpr 44
		.amdhsa_next_free_sgpr 40
		.amdhsa_named_barrier_count 0
		.amdhsa_reserve_vcc 1
		.amdhsa_float_round_mode_32 0
		.amdhsa_float_round_mode_16_64 0
		.amdhsa_float_denorm_mode_32 3
		.amdhsa_float_denorm_mode_16_64 3
		.amdhsa_fp16_overflow 0
		.amdhsa_memory_ordered 1
		.amdhsa_forward_progress 1
		.amdhsa_inst_pref_size 40
		.amdhsa_round_robin_scheduling 0
		.amdhsa_exception_fp_ieee_invalid_op 0
		.amdhsa_exception_fp_denorm_src 0
		.amdhsa_exception_fp_ieee_div_zero 0
		.amdhsa_exception_fp_ieee_overflow 0
		.amdhsa_exception_fp_ieee_underflow 0
		.amdhsa_exception_fp_ieee_inexact 0
		.amdhsa_exception_int_div_zero 0
	.end_amdhsa_kernel
	.section	.text._ZN2at6native12_GLOBAL__N_123philox_multi_key_kernelIdZZZZNS0_20_philox_normal_cuda_ERNS_6TensorERKS3_ddENKUlvE_clEvENKUlvE_clEvENKUlvE_clEvEUlmmE_ZZZNS0_20_philox_normal_cuda_ES4_S6_ddENKS7_clEvENKS8_clEvEUldE_EEvPT_PKmllT0_T1_16OffsetCalculatorILi1EjLb0EE,"axG",@progbits,_ZN2at6native12_GLOBAL__N_123philox_multi_key_kernelIdZZZZNS0_20_philox_normal_cuda_ERNS_6TensorERKS3_ddENKUlvE_clEvENKUlvE_clEvENKUlvE_clEvEUlmmE_ZZZNS0_20_philox_normal_cuda_ES4_S6_ddENKS7_clEvENKS8_clEvEUldE_EEvPT_PKmllT0_T1_16OffsetCalculatorILi1EjLb0EE,comdat
.Lfunc_end9:
	.size	_ZN2at6native12_GLOBAL__N_123philox_multi_key_kernelIdZZZZNS0_20_philox_normal_cuda_ERNS_6TensorERKS3_ddENKUlvE_clEvENKUlvE_clEvENKUlvE_clEvEUlmmE_ZZZNS0_20_philox_normal_cuda_ES4_S6_ddENKS7_clEvENKS8_clEvEUldE_EEvPT_PKmllT0_T1_16OffsetCalculatorILi1EjLb0EE, .Lfunc_end9-_ZN2at6native12_GLOBAL__N_123philox_multi_key_kernelIdZZZZNS0_20_philox_normal_cuda_ERNS_6TensorERKS3_ddENKUlvE_clEvENKUlvE_clEvENKUlvE_clEvEUlmmE_ZZZNS0_20_philox_normal_cuda_ES4_S6_ddENKS7_clEvENKS8_clEvEUldE_EEvPT_PKmllT0_T1_16OffsetCalculatorILi1EjLb0EE
                                        ; -- End function
	.set _ZN2at6native12_GLOBAL__N_123philox_multi_key_kernelIdZZZZNS0_20_philox_normal_cuda_ERNS_6TensorERKS3_ddENKUlvE_clEvENKUlvE_clEvENKUlvE_clEvEUlmmE_ZZZNS0_20_philox_normal_cuda_ES4_S6_ddENKS7_clEvENKS8_clEvEUldE_EEvPT_PKmllT0_T1_16OffsetCalculatorILi1EjLb0EE.num_vgpr, 44
	.set _ZN2at6native12_GLOBAL__N_123philox_multi_key_kernelIdZZZZNS0_20_philox_normal_cuda_ERNS_6TensorERKS3_ddENKUlvE_clEvENKUlvE_clEvENKUlvE_clEvEUlmmE_ZZZNS0_20_philox_normal_cuda_ES4_S6_ddENKS7_clEvENKS8_clEvEUldE_EEvPT_PKmllT0_T1_16OffsetCalculatorILi1EjLb0EE.num_agpr, 0
	.set _ZN2at6native12_GLOBAL__N_123philox_multi_key_kernelIdZZZZNS0_20_philox_normal_cuda_ERNS_6TensorERKS3_ddENKUlvE_clEvENKUlvE_clEvENKUlvE_clEvEUlmmE_ZZZNS0_20_philox_normal_cuda_ES4_S6_ddENKS7_clEvENKS8_clEvEUldE_EEvPT_PKmllT0_T1_16OffsetCalculatorILi1EjLb0EE.numbered_sgpr, 40
	.set _ZN2at6native12_GLOBAL__N_123philox_multi_key_kernelIdZZZZNS0_20_philox_normal_cuda_ERNS_6TensorERKS3_ddENKUlvE_clEvENKUlvE_clEvENKUlvE_clEvEUlmmE_ZZZNS0_20_philox_normal_cuda_ES4_S6_ddENKS7_clEvENKS8_clEvEUldE_EEvPT_PKmllT0_T1_16OffsetCalculatorILi1EjLb0EE.num_named_barrier, 0
	.set _ZN2at6native12_GLOBAL__N_123philox_multi_key_kernelIdZZZZNS0_20_philox_normal_cuda_ERNS_6TensorERKS3_ddENKUlvE_clEvENKUlvE_clEvENKUlvE_clEvEUlmmE_ZZZNS0_20_philox_normal_cuda_ES4_S6_ddENKS7_clEvENKS8_clEvEUldE_EEvPT_PKmllT0_T1_16OffsetCalculatorILi1EjLb0EE.private_seg_size, 0
	.set _ZN2at6native12_GLOBAL__N_123philox_multi_key_kernelIdZZZZNS0_20_philox_normal_cuda_ERNS_6TensorERKS3_ddENKUlvE_clEvENKUlvE_clEvENKUlvE_clEvEUlmmE_ZZZNS0_20_philox_normal_cuda_ES4_S6_ddENKS7_clEvENKS8_clEvEUldE_EEvPT_PKmllT0_T1_16OffsetCalculatorILi1EjLb0EE.uses_vcc, 1
	.set _ZN2at6native12_GLOBAL__N_123philox_multi_key_kernelIdZZZZNS0_20_philox_normal_cuda_ERNS_6TensorERKS3_ddENKUlvE_clEvENKUlvE_clEvENKUlvE_clEvEUlmmE_ZZZNS0_20_philox_normal_cuda_ES4_S6_ddENKS7_clEvENKS8_clEvEUldE_EEvPT_PKmllT0_T1_16OffsetCalculatorILi1EjLb0EE.uses_flat_scratch, 0
	.set _ZN2at6native12_GLOBAL__N_123philox_multi_key_kernelIdZZZZNS0_20_philox_normal_cuda_ERNS_6TensorERKS3_ddENKUlvE_clEvENKUlvE_clEvENKUlvE_clEvEUlmmE_ZZZNS0_20_philox_normal_cuda_ES4_S6_ddENKS7_clEvENKS8_clEvEUldE_EEvPT_PKmllT0_T1_16OffsetCalculatorILi1EjLb0EE.has_dyn_sized_stack, 0
	.set _ZN2at6native12_GLOBAL__N_123philox_multi_key_kernelIdZZZZNS0_20_philox_normal_cuda_ERNS_6TensorERKS3_ddENKUlvE_clEvENKUlvE_clEvENKUlvE_clEvEUlmmE_ZZZNS0_20_philox_normal_cuda_ES4_S6_ddENKS7_clEvENKS8_clEvEUldE_EEvPT_PKmllT0_T1_16OffsetCalculatorILi1EjLb0EE.has_recursion, 0
	.set _ZN2at6native12_GLOBAL__N_123philox_multi_key_kernelIdZZZZNS0_20_philox_normal_cuda_ERNS_6TensorERKS3_ddENKUlvE_clEvENKUlvE_clEvENKUlvE_clEvEUlmmE_ZZZNS0_20_philox_normal_cuda_ES4_S6_ddENKS7_clEvENKS8_clEvEUldE_EEvPT_PKmllT0_T1_16OffsetCalculatorILi1EjLb0EE.has_indirect_call, 0
	.section	.AMDGPU.csdata,"",@progbits
; Kernel info:
; codeLenInByte = 5024
; TotalNumSgprs: 42
; NumVgprs: 44
; ScratchSize: 0
; MemoryBound: 0
; FloatMode: 240
; IeeeMode: 1
; LDSByteSize: 0 bytes/workgroup (compile time only)
; SGPRBlocks: 0
; VGPRBlocks: 2
; NumSGPRsForWavesPerEU: 42
; NumVGPRsForWavesPerEU: 44
; NamedBarCnt: 0
; Occupancy: 16
; WaveLimiterHint : 1
; COMPUTE_PGM_RSRC2:SCRATCH_EN: 0
; COMPUTE_PGM_RSRC2:USER_SGPR: 2
; COMPUTE_PGM_RSRC2:TRAP_HANDLER: 0
; COMPUTE_PGM_RSRC2:TGID_X_EN: 1
; COMPUTE_PGM_RSRC2:TGID_Y_EN: 0
; COMPUTE_PGM_RSRC2:TGID_Z_EN: 0
; COMPUTE_PGM_RSRC2:TIDIG_COMP_CNT: 0
	.section	.text._ZN2at6native12_GLOBAL__N_124philox_single_key_kernelIfZZZZNS0_20_philox_normal_cuda_ERNS_6TensorERKS3_ddENKUlvE_clEvENKUlvE0_clEvENKUlvE_clEvEUlmmE0_ZZZNS0_20_philox_normal_cuda_ES4_S6_ddENKS7_clEvENKS8_clEvEUlfE_EEvPT_PKmlT0_T1_,"axG",@progbits,_ZN2at6native12_GLOBAL__N_124philox_single_key_kernelIfZZZZNS0_20_philox_normal_cuda_ERNS_6TensorERKS3_ddENKUlvE_clEvENKUlvE0_clEvENKUlvE_clEvEUlmmE0_ZZZNS0_20_philox_normal_cuda_ES4_S6_ddENKS7_clEvENKS8_clEvEUlfE_EEvPT_PKmlT0_T1_,comdat
	.globl	_ZN2at6native12_GLOBAL__N_124philox_single_key_kernelIfZZZZNS0_20_philox_normal_cuda_ERNS_6TensorERKS3_ddENKUlvE_clEvENKUlvE0_clEvENKUlvE_clEvEUlmmE0_ZZZNS0_20_philox_normal_cuda_ES4_S6_ddENKS7_clEvENKS8_clEvEUlfE_EEvPT_PKmlT0_T1_ ; -- Begin function _ZN2at6native12_GLOBAL__N_124philox_single_key_kernelIfZZZZNS0_20_philox_normal_cuda_ERNS_6TensorERKS3_ddENKUlvE_clEvENKUlvE0_clEvENKUlvE_clEvEUlmmE0_ZZZNS0_20_philox_normal_cuda_ES4_S6_ddENKS7_clEvENKS8_clEvEUlfE_EEvPT_PKmlT0_T1_
	.p2align	8
	.type	_ZN2at6native12_GLOBAL__N_124philox_single_key_kernelIfZZZZNS0_20_philox_normal_cuda_ERNS_6TensorERKS3_ddENKUlvE_clEvENKUlvE0_clEvENKUlvE_clEvEUlmmE0_ZZZNS0_20_philox_normal_cuda_ES4_S6_ddENKS7_clEvENKS8_clEvEUlfE_EEvPT_PKmlT0_T1_,@function
_ZN2at6native12_GLOBAL__N_124philox_single_key_kernelIfZZZZNS0_20_philox_normal_cuda_ERNS_6TensorERKS3_ddENKUlvE_clEvENKUlvE0_clEvENKUlvE_clEvEUlmmE0_ZZZNS0_20_philox_normal_cuda_ES4_S6_ddENKS7_clEvENKS8_clEvEUlfE_EEvPT_PKmlT0_T1_: ; @_ZN2at6native12_GLOBAL__N_124philox_single_key_kernelIfZZZZNS0_20_philox_normal_cuda_ERNS_6TensorERKS3_ddENKUlvE_clEvENKUlvE0_clEvENKUlvE_clEvEUlmmE0_ZZZNS0_20_philox_normal_cuda_ES4_S6_ddENKS7_clEvENKS8_clEvEUlfE_EEvPT_PKmlT0_T1_
; %bb.0:
	s_clause 0x3
	s_load_b64 s[16:17], s[2:3], 0x10
	s_load_b32 s8, s[2:3], 0x34
	s_load_b128 s[4:7], s[2:3], 0x0
	s_load_b64 s[12:13], s[2:3], 0x1c
	s_wait_xcnt 0x0
	s_bfe_u32 s2, ttmp6, 0x4000c
	s_mov_b32 s3, 0
	s_add_co_i32 s2, s2, 1
	s_and_b32 s9, ttmp6, 15
	s_mul_i32 s18, ttmp9, s2
	s_getreg_b32 s10, hwreg(HW_REG_IB_STS2, 6, 4)
	v_mov_b32_e32 v3, 0
	v_and_b32_e32 v2, 0x3ff, v0
	s_wait_kmcnt 0x0
	s_ashr_i32 s11, s17, 31
	s_and_b32 s19, s8, 0xffff
	s_lshr_b32 s2, s11, 30
	s_delay_alu instid0(SALU_CYCLE_1) | instskip(NEXT) | instid1(SALU_CYCLE_1)
	s_add_nc_u64 s[2:3], s[16:17], s[2:3]
	s_ashr_i64 s[14:15], s[2:3], 2
	s_add_co_i32 s2, s9, s18
	s_cmp_eq_u32 s10, 0
	s_load_b128 s[8:11], s[6:7], 0x0
	s_cselect_b32 s2, ttmp9, s2
	s_wait_xcnt 0x0
	s_mov_b32 s6, exec_lo
	v_mad_nc_u64_u32 v[4:5], s19, s2, v[2:3]
	s_delay_alu instid0(VALU_DEP_1)
	v_cmpx_gt_i64_e64 s[14:15], v[4:5]
	s_cbranch_execz .LBB10_2
; %bb.1:
	s_wait_kmcnt 0x0
	v_add_nc_u64_e32 v[6:7], s[10:11], v[4:5]
	v_mov_b32_e32 v9, v3
	s_mov_b64 s[2:3], 0xd2511f53
	v_dual_mov_b32 v11, v3 :: v_dual_mov_b32 v13, v3
	s_mov_b64 s[18:19], 0xcd9e8d57
	s_delay_alu instid0(VALU_DEP_3) | instskip(SKIP_1) | instid1(VALU_DEP_2)
	v_dual_mov_b32 v8, v6 :: v_dual_bitop2_b32 v12, s8, v7 bitop3:0x14
	v_mul_lo_u32 v1, 0xd2511f53, v6
	v_mul_u64_e32 v[8:9], s[2:3], v[8:9]
	s_delay_alu instid0(VALU_DEP_3) | instskip(SKIP_3) | instid1(VALU_DEP_3)
	v_mul_u64_e32 v[14:15], s[2:3], v[12:13]
	s_add_co_i32 s2, s8, 0x9e3779b9
	s_add_co_i32 s3, s9, 0xbb67ae85
	v_mul_lo_u32 v6, 0xd2511f53, v12
	v_xor_b32_e32 v10, s9, v9
	s_delay_alu instid0(VALU_DEP_3) | instskip(SKIP_1) | instid1(VALU_DEP_2)
	v_xor3_b32 v1, v1, s3, v15
	s_add_co_i32 s3, s8, 0x3c6ef372
	v_mul_u64_e32 v[8:9], s[18:19], v[10:11]
	v_mul_lo_u32 v7, 0xcd9e8d57, v10
	s_delay_alu instid0(VALU_DEP_2) | instskip(SKIP_3) | instid1(VALU_DEP_3)
	v_xor_b32_e32 v3, s2, v9
	v_mul_hi_u32 v9, 0xcd9e8d57, v1
	s_add_co_i32 s2, s9, 0x76cf5d0a
	v_mul_lo_u32 v1, 0xcd9e8d57, v1
	v_mul_hi_u32 v8, 0xd2511f53, v3
	v_mul_lo_u32 v3, 0xd2511f53, v3
	s_delay_alu instid0(VALU_DEP_4) | instskip(SKIP_1) | instid1(VALU_DEP_3)
	v_xor3_b32 v7, v7, s3, v9
	s_add_co_i32 s3, s9, 0x32370b8f
	v_xor3_b32 v6, v6, s2, v8
	s_delay_alu instid0(VALU_DEP_2) | instskip(SKIP_2) | instid1(VALU_DEP_3)
	v_mul_hi_u32 v9, 0xd2511f53, v7
	s_add_co_i32 s2, s8, 0xdaa66d2b
	v_mul_lo_u32 v7, 0xd2511f53, v7
	v_mul_hi_u32 v8, 0xcd9e8d57, v6
	v_mul_lo_u32 v6, 0xcd9e8d57, v6
	s_delay_alu instid0(VALU_DEP_4) | instskip(SKIP_1) | instid1(VALU_DEP_3)
	v_xor3_b32 v3, v3, s3, v9
	s_add_co_i32 s3, s8, 0x78dde6e4
	v_xor3_b32 v1, v1, s2, v8
	s_delay_alu instid0(VALU_DEP_2) | instskip(SKIP_2) | instid1(VALU_DEP_3)
	v_mul_hi_u32 v9, 0xcd9e8d57, v3
	s_add_co_i32 s2, s9, 0xed9eba14
	v_mul_lo_u32 v3, 0xcd9e8d57, v3
	v_mul_hi_u32 v8, 0xd2511f53, v1
	v_mul_lo_u32 v1, 0xd2511f53, v1
	s_delay_alu instid0(VALU_DEP_4) | instskip(SKIP_1) | instid1(VALU_DEP_3)
	v_xor3_b32 v6, v6, s3, v9
	s_add_co_i32 s3, s9, 0xa9066899
	v_xor3_b32 v7, v7, s2, v8
	s_delay_alu instid0(VALU_DEP_2) | instskip(SKIP_2) | instid1(VALU_DEP_3)
	v_mul_hi_u32 v9, 0xd2511f53, v6
	s_add_co_i32 s2, s8, 0x1715609d
	v_mul_lo_u32 v6, 0xd2511f53, v6
	v_mul_hi_u32 v8, 0xcd9e8d57, v7
	v_mul_lo_u32 v7, 0xcd9e8d57, v7
	s_delay_alu instid0(VALU_DEP_4) | instskip(SKIP_1) | instid1(VALU_DEP_3)
	v_xor3_b32 v1, v1, s3, v9
	s_add_co_i32 s3, s8, 0xb54cda56
	v_xor3_b32 v3, v3, s2, v8
	s_delay_alu instid0(VALU_DEP_2) | instskip(SKIP_2) | instid1(VALU_DEP_3)
	v_mul_hi_u32 v9, 0xcd9e8d57, v1
	s_add_co_i32 s2, s9, 0x646e171e
	v_mul_lo_u32 v1, 0xcd9e8d57, v1
	v_mul_hi_u32 v8, 0xd2511f53, v3
	v_mul_lo_u32 v3, 0xd2511f53, v3
	s_delay_alu instid0(VALU_DEP_4) | instskip(SKIP_1) | instid1(VALU_DEP_3)
	v_xor3_b32 v7, v7, s3, v9
	s_add_co_i32 s3, s9, 0x1fd5c5a3
	v_xor3_b32 v6, v6, s2, v8
	s_delay_alu instid0(VALU_DEP_2) | instskip(SKIP_2) | instid1(VALU_DEP_3)
	v_mul_hi_u32 v9, 0xd2511f53, v7
	s_add_co_i32 s2, s8, 0x5384540f
	v_mul_lo_u32 v7, 0xd2511f53, v7
	v_mul_hi_u32 v8, 0xcd9e8d57, v6
	v_mul_lo_u32 v6, 0xcd9e8d57, v6
	s_delay_alu instid0(VALU_DEP_4) | instskip(SKIP_1) | instid1(VALU_DEP_3)
	v_xor3_b32 v3, v3, s3, v9
	s_add_co_i32 s3, s8, 0xf1bbcdc8
	v_xor3_b32 v1, v1, s2, v8
	s_delay_alu instid0(VALU_DEP_2) | instskip(SKIP_2) | instid1(VALU_DEP_3)
	v_mul_hi_u32 v9, 0xcd9e8d57, v3
	s_add_co_i32 s2, s9, 0xdb3d7428
	v_mul_lo_u32 v3, 0xcd9e8d57, v3
	v_mul_hi_u32 v8, 0xd2511f53, v1
	v_mul_lo_u32 v1, 0xd2511f53, v1
	s_delay_alu instid0(VALU_DEP_4) | instskip(SKIP_1) | instid1(VALU_DEP_3)
	v_xor3_b32 v6, v6, s3, v9
	s_add_co_i32 s3, s9, 0x96a522ad
	v_xor3_b32 v7, v7, s2, v8
	s_delay_alu instid0(VALU_DEP_2) | instskip(SKIP_2) | instid1(VALU_DEP_3)
	v_mul_hi_u32 v9, 0xd2511f53, v6
	s_add_co_i32 s2, s8, 0x8ff34781
	v_mul_lo_u32 v6, 0xd2511f53, v6
	v_mul_hi_u32 v8, 0xcd9e8d57, v7
	v_mul_lo_u32 v7, 0xcd9e8d57, v7
	s_delay_alu instid0(VALU_DEP_4) | instskip(SKIP_1) | instid1(VALU_DEP_4)
	v_xor3_b32 v1, v1, s3, v9
	s_mov_b32 s3, 0x2f800000
	v_cvt_f32_u32_e32 v6, v6
	s_delay_alu instid0(VALU_DEP_4) | instskip(NEXT) | instid1(VALU_DEP_3)
	v_xor3_b32 v3, v3, s2, v8
	v_cvt_f32_u32_e32 v1, v1
	v_cvt_f32_u32_e32 v7, v7
	s_delay_alu instid0(VALU_DEP_4) | instskip(NEXT) | instid1(VALU_DEP_4)
	v_fmaak_f32 v6, s3, v6, 0x2f000000
	v_cvt_f32_u32_e32 v3, v3
	s_delay_alu instid0(VALU_DEP_4) | instskip(NEXT) | instid1(VALU_DEP_4)
	v_fmaak_f32 v1, s3, v1, 0x2f000000
	v_fmaak_f32 v7, s3, v7, 0x2f000000
	s_delay_alu instid0(VALU_DEP_4) | instskip(NEXT) | instid1(VALU_DEP_4)
	v_mul_f32_e32 v6, 0x40c90fdb, v6
	v_fmaak_f32 v3, s3, v3, 0x2f000000
	s_delay_alu instid0(VALU_DEP_4) | instskip(NEXT) | instid1(VALU_DEP_3)
	v_cmp_gt_f32_e64 s2, 0x800000, v1
	v_mul_f32_e32 v6, 0.15915494, v6
	s_delay_alu instid0(VALU_DEP_3) | instskip(NEXT) | instid1(VALU_DEP_3)
	v_cmp_gt_f32_e32 vcc_lo, 0x800000, v3
	v_cndmask_b32_e64 v9, 0, 32, s2
	v_cndmask_b32_e64 v10, 0, 0x41b17218, s2
	v_cndmask_b32_e64 v8, 0, 32, vcc_lo
	s_delay_alu instid0(VALU_DEP_3) | instskip(SKIP_1) | instid1(VALU_DEP_3)
	v_ldexp_f32 v1, v1, v9
	v_cndmask_b32_e64 v11, 0, 0x41b17218, vcc_lo
	v_ldexp_f32 v3, v3, v8
	s_delay_alu instid0(VALU_DEP_3) | instskip(NEXT) | instid1(VALU_DEP_1)
	v_log_f32_e32 v1, v1
	v_log_f32_e32 v3, v3
	v_nop
	s_delay_alu instid0(TRANS32_DEP_1) | instskip(NEXT) | instid1(VALU_DEP_1)
	v_dual_mul_f32 v9, 0x3f317217, v1 :: v_dual_mul_f32 v8, 0x3f317217, v3
	v_fma_f32 v9, 0x3f317217, v1, -v9
	v_cmp_gt_f32_e64 vcc_lo, 0x7f800000, |v3|
	s_delay_alu instid0(VALU_DEP_3) | instskip(NEXT) | instid1(VALU_DEP_1)
	v_fma_f32 v8, 0x3f317217, v3, -v8
	v_dual_fmac_f32 v9, 0x3377d1cf, v1 :: v_dual_fmac_f32 v8, 0x3377d1cf, v3
	s_delay_alu instid0(VALU_DEP_1) | instskip(NEXT) | instid1(VALU_DEP_1)
	v_dual_fmac_f32 v9, 0x3f317217, v1 :: v_dual_fmac_f32 v8, 0x3f317217, v3
	v_cndmask_b32_e32 v3, v3, v8, vcc_lo
	v_cmp_gt_f32_e64 vcc_lo, 0x7f800000, |v1|
	s_delay_alu instid0(VALU_DEP_3) | instskip(NEXT) | instid1(VALU_DEP_1)
	v_cndmask_b32_e32 v1, v1, v9, vcc_lo
	v_dual_sub_f32 v1, v1, v10 :: v_dual_sub_f32 v3, v3, v11
	s_delay_alu instid0(VALU_DEP_1) | instskip(NEXT) | instid1(VALU_DEP_1)
	v_mul_f32_e32 v1, -2.0, v1
	v_mul_f32_e32 v9, 0x4f800000, v1
	v_cmp_gt_f32_e64 s2, 0xf800000, v1
	s_delay_alu instid0(VALU_DEP_1) | instskip(NEXT) | instid1(VALU_DEP_1)
	v_dual_mul_f32 v3, -2.0, v3 :: v_dual_cndmask_b32 v1, v1, v9, s2
	v_cmp_gt_f32_e32 vcc_lo, 0xf800000, v3
	s_delay_alu instid0(VALU_DEP_2) | instskip(SKIP_1) | instid1(TRANS32_DEP_1)
	v_sqrt_f32_e32 v9, v1
	v_nop
	v_dual_mul_f32 v8, 0x4f800000, v3 :: v_dual_add_nc_u32 v11, -1, v9
	s_delay_alu instid0(VALU_DEP_1) | instskip(NEXT) | instid1(VALU_DEP_2)
	v_dual_cndmask_b32 v3, v3, v8 :: v_dual_add_nc_u32 v12, 1, v9
	v_fma_f32 v15, -v11, v9, v1
	s_delay_alu instid0(VALU_DEP_2) | instskip(SKIP_1) | instid1(TRANS32_DEP_1)
	v_sqrt_f32_e32 v8, v3
	v_nop
	v_dual_add_nc_u32 v10, -1, v8 :: v_dual_add_nc_u32 v13, 1, v8
	s_delay_alu instid0(VALU_DEP_1) | instskip(NEXT) | instid1(VALU_DEP_2)
	v_dual_fma_f32 v16, -v12, v9, v1 :: v_dual_fma_f32 v14, -v10, v8, v3
	v_fma_f32 v17, -v13, v8, v3
	s_delay_alu instid0(VALU_DEP_2) | instskip(NEXT) | instid1(VALU_DEP_1)
	v_cmp_ge_f32_e64 s3, 0, v14
	v_cndmask_b32_e64 v8, v8, v10, s3
	v_cmp_ge_f32_e64 s3, 0, v15
	s_delay_alu instid0(VALU_DEP_1) | instskip(SKIP_1) | instid1(VALU_DEP_1)
	v_cndmask_b32_e64 v9, v9, v11, s3
	v_cmp_lt_f32_e64 s3, 0, v17
	v_cndmask_b32_e64 v8, v8, v13, s3
	v_cmp_lt_f32_e64 s3, 0, v16
	s_delay_alu instid0(VALU_DEP_1) | instskip(NEXT) | instid1(VALU_DEP_1)
	v_cndmask_b32_e64 v10, v9, v12, s3
	v_dual_mul_f32 v9, 0x37800000, v8 :: v_dual_mul_f32 v12, 0x37800000, v10
	s_delay_alu instid0(VALU_DEP_1) | instskip(SKIP_1) | instid1(VALU_DEP_3)
	v_cndmask_b32_e32 v13, v8, v9, vcc_lo
	v_cmp_class_f32_e64 vcc_lo, v3, 0x260
	v_cndmask_b32_e64 v12, v10, v12, s2
	s_mov_b32 s2, s13
	v_cndmask_b32_e32 v10, v13, v3, vcc_lo
	v_cmp_class_f32_e64 vcc_lo, v1, 0x260
	s_delay_alu instid0(VALU_DEP_3) | instskip(NEXT) | instid1(VALU_DEP_1)
	v_dual_mul_f32 v7, 0x40c90fdb, v7 :: v_dual_cndmask_b32 v12, v12, v1
	v_mul_f32_e32 v11, 0.15915494, v7
	v_sin_f32_e32 v7, v6
	v_cos_f32_e32 v6, v6
	s_delay_alu instid0(VALU_DEP_1) | instskip(SKIP_2) | instid1(TRANS32_DEP_1)
	v_sin_f32_e32 v9, v11
	v_cos_f32_e32 v8, v11
	v_nop
	v_pk_mul_f32 v[8:9], v[8:9], v[10:11] op_sel_hi:[1,0]
	s_delay_alu instid0(TRANS32_DEP_3) | instskip(SKIP_1) | instid1(VALU_DEP_3)
	v_pk_mul_f32 v[10:11], v[6:7], v[12:13] op_sel_hi:[1,0]
	v_lshl_add_u64 v[12:13], v[4:5], 4, s[4:5]
	v_pk_fma_f32 v[6:7], s[2:3], v[8:9], s[12:13] op_sel_hi:[0,1,0]
	s_delay_alu instid0(VALU_DEP_3)
	v_pk_fma_f32 v[8:9], s[2:3], v[10:11], s[12:13] op_sel_hi:[0,1,0]
	global_store_b128 v[12:13], v[6:9], off
.LBB10_2:
	s_wait_xcnt 0x0
	s_or_b32 exec_lo, exec_lo, s6
	s_delay_alu instid0(SALU_CYCLE_1)
	s_mov_b32 s2, exec_lo
	v_cmpx_eq_u64_e64 s[14:15], v[4:5]
	s_cbranch_execz .LBB10_11
; %bb.3:
	s_wait_kmcnt 0x0
	s_add_nc_u64 s[2:3], s[10:11], s[14:15]
	s_mov_b64 s[6:7], 0xffffffff
	s_mov_b64 s[10:11], 0xd2511f53
	s_and_b64 s[6:7], s[2:3], s[6:7]
	s_mov_b32 s19, 0
	s_mul_u64 s[6:7], s[6:7], s[10:11]
	s_mul_i32 s20, s2, 0xd2511f53
	s_xor_b32 s2, s3, s8
	s_xor_b64 s[6:7], s[6:7], s[8:9]
	s_mov_b32 s3, s19
	s_mov_b32 s18, s7
	s_mul_i32 s23, s2, 0xd2511f53
	s_mul_u64 s[2:3], s[2:3], s[10:11]
	s_mov_b64 s[10:11], 0xcd9e8d57
	s_add_co_i32 s22, s9, 0xbb67ae85
	s_mul_i32 s2, s7, 0xcd9e8d57
	s_mul_u64 s[6:7], s[18:19], s[10:11]
	s_add_co_i32 s21, s8, 0x9e3779b9
	s_xor_b32 s6, s20, s22
	s_xor_b32 s7, s21, s7
	s_xor_b32 s3, s6, s3
	s_add_co_i32 s6, s8, 0x3c6ef372
	s_add_co_i32 s10, s9, 0x76cf5d0a
	s_mul_i32 s11, s7, 0xd2511f53
	s_mul_hi_u32 s7, s7, 0xd2511f53
	s_mul_i32 s18, s3, 0xcd9e8d57
	s_mul_hi_u32 s3, s3, 0xcd9e8d57
	s_xor_b32 s2, s2, s6
	s_xor_b32 s6, s23, s10
	s_xor_b32 s2, s2, s3
	s_xor_b32 s3, s6, s7
	s_add_co_i32 s6, s8, 0xdaa66d2b
	s_add_co_i32 s7, s9, 0x32370b8f
	s_mul_i32 s10, s2, 0xd2511f53
	s_mul_hi_u32 s2, s2, 0xd2511f53
	s_mul_i32 s19, s3, 0xcd9e8d57
	s_mul_hi_u32 s3, s3, 0xcd9e8d57
	s_xor_b32 s6, s18, s6
	;; [unrolled: 10-line block ×5, first 2 shown]
	s_xor_b32 s7, s10, s7
	s_xor_b32 s2, s6, s2
	s_xor_b32 s3, s7, s3
	s_add_co_i32 s6, s8, 0x5384540f
	s_add_co_i32 s7, s9, 0x1fd5c5a3
	s_mul_hi_u32 s10, s2, 0xd2511f53
	s_mul_i32 s19, s3, 0xcd9e8d57
	s_mul_hi_u32 s3, s3, 0xcd9e8d57
	s_xor_b32 s6, s18, s6
	s_xor_b32 s7, s11, s7
	;; [unrolled: 1-line block ×4, first 2 shown]
	s_add_co_i32 s7, s8, 0xf1bbcdc8
	s_mul_hi_u32 s10, s6, 0xcd9e8d57
	s_xor_b32 s7, s19, s7
	s_mul_i32 s11, s3, 0xd2511f53
	s_xor_b32 s7, s7, s10
	s_add_co_i32 s10, s9, 0x96a522ad
	s_mul_hi_u32 s18, s7, 0xd2511f53
	s_xor_b32 s10, s11, s10
	s_mov_b32 s11, 0x2f800000
	s_xor_b32 s10, s10, s18
	s_mul_i32 s2, s2, 0xd2511f53
	s_cvt_f32_u32 s10, s10
	s_mul_hi_u32 s3, s3, 0xd2511f53
	s_mul_i32 s6, s6, 0xcd9e8d57
	s_mul_i32 s7, s7, 0xd2511f53
	s_fmaak_f32 s10, s10, s11, 0x2f000000
	v_bfe_u32 v1, v0, 10, 10
	v_bfe_u32 v4, v0, 20, 10
	s_delay_alu instid0(SALU_CYCLE_1) | instskip(SKIP_3) | instid1(SALU_CYCLE_3)
	s_cmp_lt_f32 s10, 0x800000
	s_cselect_b32 s18, 0x4f800000, 1.0
	s_cselect_b32 s19, 0x41b17218, 0
	s_mul_f32 s10, s10, s18
	v_s_log_f32 s10, s10
	s_delay_alu instid0(TRANS32_DEP_1) | instskip(SKIP_1) | instid1(SALU_CYCLE_2)
	s_mul_f32 s18, s10, 0x3f317217
	s_and_b32 s20, s10, 0x7fffffff
	s_xor_b32 s18, s18, 0x80000000
	s_cmp_lt_f32 s20, 0x7f800000
	s_fmamk_f32 s18, s10, 0x3f317217, s18
	s_delay_alu instid0(SALU_CYCLE_3) | instskip(NEXT) | instid1(SALU_CYCLE_3)
	s_fmamk_f32 s18, s10, 0x3377d1cf, s18
	s_fmamk_f32 s18, s10, 0x3f317217, s18
	s_delay_alu instid0(SALU_CYCLE_3) | instskip(NEXT) | instid1(SALU_CYCLE_1)
	s_cselect_b32 s10, s18, s10
	s_sub_f32 s10, s10, s19
	s_delay_alu instid0(SALU_CYCLE_3) | instskip(NEXT) | instid1(SALU_CYCLE_3)
	s_mul_f32 s10, s10, -2.0
	s_mul_f32 s18, s10, 0x4f800000
	s_cmp_lt_f32 s10, 0xf800000
	s_delay_alu instid0(SALU_CYCLE_2) | instskip(NEXT) | instid1(SALU_CYCLE_1)
	s_cselect_b32 s18, s18, s10
	v_s_sqrt_f32 s19, s18
	s_mov_b32 s22, s18
	s_delay_alu instid0(TRANS32_DEP_1) | instskip(NEXT) | instid1(SALU_CYCLE_1)
	s_add_co_i32 s20, s19, -1
	s_xor_b32 s21, s20, 0x80000000
	s_delay_alu instid0(SALU_CYCLE_1) | instskip(NEXT) | instid1(SALU_CYCLE_3)
	s_fmac_f32 s22, s21, s19
	s_cmp_le_f32 s22, 0
	s_mov_b32 s22, s18
	s_cselect_b32 s20, s20, s19
	s_add_co_i32 s21, s19, 1
	s_delay_alu instid0(SALU_CYCLE_1) | instskip(NEXT) | instid1(SALU_CYCLE_1)
	s_xor_b32 s23, s21, 0x80000000
	s_fmac_f32 s22, s23, s19
	s_delay_alu instid0(SALU_CYCLE_3) | instskip(SKIP_3) | instid1(SALU_CYCLE_3)
	s_cmp_gt_f32 s22, 0
	s_cselect_b32 s19, s21, s20
	s_cmp_lt_f32 s10, 0xf800000
	s_mul_f32 s10, s19, 0x37800000
	s_cselect_b32 s10, s10, s19
	s_add_co_i32 s9, s9, 0xdb3d7428
	s_add_co_i32 s8, s8, 0x8ff34781
	s_xor_b32 s2, s2, s9
	s_delay_alu instid0(SALU_CYCLE_1)
	s_xor_b32 s9, s2, s3
	s_xor_b32 s2, s6, s8
	s_mul_hi_u32 s3, s9, 0xcd9e8d57
	s_mul_i32 s9, s9, 0xcd9e8d57
	s_xor_b32 s2, s2, s3
	s_cvt_f32_u32 s9, s9
	s_cvt_f32_u32 s2, s2
	s_delay_alu instid0(SALU_CYCLE_2) | instskip(NEXT) | instid1(SALU_CYCLE_2)
	s_fmaak_f32 s9, s9, s11, 0x2f000000
	s_fmaak_f32 s2, s2, s11, 0x2f000000
	s_delay_alu instid0(SALU_CYCLE_3) | instskip(SKIP_3) | instid1(SALU_CYCLE_3)
	s_cmp_lt_f32 s2, 0x800000
	s_cselect_b32 s3, 0x4f800000, 1.0
	s_cselect_b32 s6, 0x41b17218, 0
	s_mul_f32 s2, s2, s3
	v_s_log_f32 s2, s2
	s_delay_alu instid0(TRANS32_DEP_1) | instskip(SKIP_1) | instid1(SALU_CYCLE_2)
	s_mul_f32 s3, s2, 0x3f317217
	s_and_b32 s8, s2, 0x7fffffff
	s_xor_b32 s3, s3, 0x80000000
	s_cmp_lt_f32 s8, 0x7f800000
	s_fmamk_f32 s3, s2, 0x3f317217, s3
	s_delay_alu instid0(SALU_CYCLE_3) | instskip(NEXT) | instid1(SALU_CYCLE_3)
	s_fmamk_f32 s3, s2, 0x3377d1cf, s3
	s_fmamk_f32 s3, s2, 0x3f317217, s3
	s_delay_alu instid0(SALU_CYCLE_3) | instskip(NEXT) | instid1(SALU_CYCLE_1)
	s_cselect_b32 s2, s3, s2
	s_sub_f32 s2, s2, s6
	s_delay_alu instid0(SALU_CYCLE_3) | instskip(NEXT) | instid1(SALU_CYCLE_3)
	s_mul_f32 s6, s2, -2.0
	s_mul_f32 s2, s6, 0x4f800000
	s_cmp_lt_f32 s6, 0xf800000
	s_delay_alu instid0(SALU_CYCLE_2) | instskip(NEXT) | instid1(SALU_CYCLE_1)
	s_cselect_b32 s8, s2, s6
	v_s_sqrt_f32 s19, s8
	s_mov_b32 s21, s8
	s_delay_alu instid0(TRANS32_DEP_1) | instskip(NEXT) | instid1(SALU_CYCLE_1)
	s_add_co_i32 s20, s19, -1
	s_xor_b32 s2, s20, 0x80000000
	s_delay_alu instid0(SALU_CYCLE_1) | instskip(SKIP_4) | instid1(SALU_CYCLE_2)
	s_fmac_f32 s21, s2, s19
	s_load_b64 s[2:3], s[0:1], 0x4
	s_wait_xcnt 0x0
	s_cvt_f32_u32 s0, s7
	s_cmp_le_f32 s21, 0
	s_fmaak_f32 s0, s0, s11, 0x2f000000
	s_cselect_b32 s1, s20, s19
	s_add_co_i32 s7, s19, 1
	s_mov_b32 s20, s8
	s_xor_b32 s21, s7, 0x80000000
	s_mul_f32 s0, s0, 0x40c90fdb
	s_fmac_f32 s20, s21, s19
	s_delay_alu instid0(SALU_CYCLE_2) | instskip(NEXT) | instid1(SALU_CYCLE_2)
	s_mul_f32 s0, s0, 0.15915494
	s_cmp_gt_f32 s20, 0
	s_delay_alu instid0(SALU_CYCLE_2)
	v_sin_f32_e32 v3, s0
	s_cselect_b32 s1, s7, s1
	s_cmp_lt_f32 s6, 0xf800000
	s_mul_f32 s6, s1, 0x37800000
	s_mul_f32 s7, s9, 0x40c90fdb
	v_cmp_class_f32_e64 s9, s18, 0x260
	s_wait_kmcnt 0x0
	v_mul_u32_u24_e32 v5, s3, v1
	s_cselect_b32 s1, s6, s1
	s_lshr_b32 s2, s2, 16
	s_delay_alu instid0(SALU_CYCLE_1)
	s_mul_i32 s2, s2, s3
	s_mul_f32 s3, s7, 0.15915494
	v_mul_lo_u32 v6, s2, v2
	v_cos_f32_e32 v2, s0
	v_cmp_class_f32_e64 s0, s8, 0x260
	s_lshl_b64 s[6:7], s[14:15], 2
	v_sin_f32_e32 v1, s3
	v_cos_f32_e32 v0, s3
	s_and_b32 s0, s0, exec_lo
	s_cselect_b32 s2, s8, s1
	s_and_b32 s0, s9, exec_lo
	s_sub_nc_u64 s[0:1], s[16:17], s[6:7]
	v_add3_u32 v4, v6, v5, v4
	v_cmp_lt_i64_e64 s3, s[0:1], 1
	s_cselect_b32 s8, s18, s10
	s_delay_alu instid0(SALU_CYCLE_1)
	v_pk_mul_f32 v[2:3], v[2:3], s[8:9] op_sel_hi:[1,0]
	v_lshlrev_b32_e32 v5, 4, v4
	s_mov_b32 s8, -1
	v_pk_mul_f32 v[0:1], v[0:1], s[2:3] op_sel_hi:[1,0]
	s_and_b32 vcc_lo, exec_lo, s3
	ds_store_b128 v5, v[0:3]
	s_cbranch_vccnz .LBB10_11
; %bb.4:
	s_cmp_eq_u64 s[0:1], 1
	s_mov_b64 s[2:3], 0
	s_cbranch_scc1 .LBB10_8
; %bb.5:
	s_mov_b32 s2, s13
	s_mov_b32 s3, s13
	;; [unrolled: 1-line block ×4, first 2 shown]
	v_mov_b64_e32 v[0:1], s[2:3]
	v_mov_b64_e32 v[2:3], s[10:11]
	s_lshl_b64 s[8:9], s[6:7], 2
	s_and_b64 s[6:7], s[16:17], 1
	v_mov_b32_e32 v6, 0
	s_sub_nc_u64 s[2:3], s[0:1], s[6:7]
	s_add_nc_u64 s[8:9], s[4:5], s[8:9]
	s_mov_b64 s[10:11], s[2:3]
.LBB10_6:                               ; =>This Inner Loop Header: Depth=1
	ds_load_b64 v[8:9], v5
	v_add_nc_u32_e32 v5, 8, v5
	s_add_nc_u64 s[10:11], s[10:11], -2
	s_delay_alu instid0(SALU_CYCLE_1)
	s_cmp_lg_u64 s[10:11], 0
	s_wait_dscnt 0x0
	v_pk_fma_f32 v[8:9], v[0:1], v[8:9], v[2:3]
	global_store_b64 v6, v[8:9], s[8:9]
	s_wait_xcnt 0x0
	s_add_nc_u64 s[8:9], s[8:9], 8
	s_cbranch_scc1 .LBB10_6
; %bb.7:
	s_cmp_lg_u64 s[6:7], 0
	s_cselect_b32 s8, -1, 0
.LBB10_8:
	s_delay_alu instid0(SALU_CYCLE_1)
	s_and_b32 vcc_lo, exec_lo, s8
	s_cbranch_vccz .LBB10_11
; %bb.9:
	v_dual_mov_b32 v1, 0 :: v_dual_lshlrev_b32 v0, 4, v4
	s_lshl_b64 s[6:7], s[14:15], 4
	s_lshl_b64 s[8:9], s[2:3], 2
	s_delay_alu instid0(SALU_CYCLE_1) | instskip(NEXT) | instid1(VALU_DEP_1)
	s_add_nc_u64 s[6:7], s[6:7], s[8:9]
	v_lshl_add_u32 v0, s2, 2, v0
	s_add_nc_u64 s[4:5], s[4:5], s[6:7]
.LBB10_10:                              ; =>This Inner Loop Header: Depth=1
	ds_load_b32 v2, v0
	s_add_nc_u64 s[2:3], s[2:3], 1
	v_add_nc_u32_e32 v0, 4, v0
	v_cmp_gt_i64_e64 s6, s[0:1], s[2:3]
	s_and_b32 vcc_lo, exec_lo, s6
	s_wait_dscnt 0x0
	v_fma_f32 v2, s13, v2, s12
	global_store_b32 v1, v2, s[4:5]
	s_wait_xcnt 0x0
	s_add_nc_u64 s[4:5], s[4:5], 4
	s_cbranch_vccnz .LBB10_10
.LBB10_11:
	s_endpgm
	.section	.rodata,"a",@progbits
	.p2align	6, 0x0
	.amdhsa_kernel _ZN2at6native12_GLOBAL__N_124philox_single_key_kernelIfZZZZNS0_20_philox_normal_cuda_ERNS_6TensorERKS3_ddENKUlvE_clEvENKUlvE0_clEvENKUlvE_clEvEUlmmE0_ZZZNS0_20_philox_normal_cuda_ES4_S6_ddENKS7_clEvENKS8_clEvEUlfE_EEvPT_PKmlT0_T1_
		.amdhsa_group_segment_fixed_size 16384
		.amdhsa_private_segment_fixed_size 0
		.amdhsa_kernarg_size 296
		.amdhsa_user_sgpr_count 4
		.amdhsa_user_sgpr_dispatch_ptr 1
		.amdhsa_user_sgpr_queue_ptr 0
		.amdhsa_user_sgpr_kernarg_segment_ptr 1
		.amdhsa_user_sgpr_dispatch_id 0
		.amdhsa_user_sgpr_kernarg_preload_length 0
		.amdhsa_user_sgpr_kernarg_preload_offset 0
		.amdhsa_user_sgpr_private_segment_size 0
		.amdhsa_wavefront_size32 1
		.amdhsa_uses_dynamic_stack 0
		.amdhsa_enable_private_segment 0
		.amdhsa_system_sgpr_workgroup_id_x 1
		.amdhsa_system_sgpr_workgroup_id_y 0
		.amdhsa_system_sgpr_workgroup_id_z 0
		.amdhsa_system_sgpr_workgroup_info 0
		.amdhsa_system_vgpr_workitem_id 2
		.amdhsa_next_free_vgpr 18
		.amdhsa_next_free_sgpr 24
		.amdhsa_named_barrier_count 0
		.amdhsa_reserve_vcc 1
		.amdhsa_float_round_mode_32 0
		.amdhsa_float_round_mode_16_64 0
		.amdhsa_float_denorm_mode_32 3
		.amdhsa_float_denorm_mode_16_64 3
		.amdhsa_fp16_overflow 0
		.amdhsa_memory_ordered 1
		.amdhsa_forward_progress 1
		.amdhsa_inst_pref_size 27
		.amdhsa_round_robin_scheduling 0
		.amdhsa_exception_fp_ieee_invalid_op 0
		.amdhsa_exception_fp_denorm_src 0
		.amdhsa_exception_fp_ieee_div_zero 0
		.amdhsa_exception_fp_ieee_overflow 0
		.amdhsa_exception_fp_ieee_underflow 0
		.amdhsa_exception_fp_ieee_inexact 0
		.amdhsa_exception_int_div_zero 0
	.end_amdhsa_kernel
	.section	.text._ZN2at6native12_GLOBAL__N_124philox_single_key_kernelIfZZZZNS0_20_philox_normal_cuda_ERNS_6TensorERKS3_ddENKUlvE_clEvENKUlvE0_clEvENKUlvE_clEvEUlmmE0_ZZZNS0_20_philox_normal_cuda_ES4_S6_ddENKS7_clEvENKS8_clEvEUlfE_EEvPT_PKmlT0_T1_,"axG",@progbits,_ZN2at6native12_GLOBAL__N_124philox_single_key_kernelIfZZZZNS0_20_philox_normal_cuda_ERNS_6TensorERKS3_ddENKUlvE_clEvENKUlvE0_clEvENKUlvE_clEvEUlmmE0_ZZZNS0_20_philox_normal_cuda_ES4_S6_ddENKS7_clEvENKS8_clEvEUlfE_EEvPT_PKmlT0_T1_,comdat
.Lfunc_end10:
	.size	_ZN2at6native12_GLOBAL__N_124philox_single_key_kernelIfZZZZNS0_20_philox_normal_cuda_ERNS_6TensorERKS3_ddENKUlvE_clEvENKUlvE0_clEvENKUlvE_clEvEUlmmE0_ZZZNS0_20_philox_normal_cuda_ES4_S6_ddENKS7_clEvENKS8_clEvEUlfE_EEvPT_PKmlT0_T1_, .Lfunc_end10-_ZN2at6native12_GLOBAL__N_124philox_single_key_kernelIfZZZZNS0_20_philox_normal_cuda_ERNS_6TensorERKS3_ddENKUlvE_clEvENKUlvE0_clEvENKUlvE_clEvEUlmmE0_ZZZNS0_20_philox_normal_cuda_ES4_S6_ddENKS7_clEvENKS8_clEvEUlfE_EEvPT_PKmlT0_T1_
                                        ; -- End function
	.set _ZN2at6native12_GLOBAL__N_124philox_single_key_kernelIfZZZZNS0_20_philox_normal_cuda_ERNS_6TensorERKS3_ddENKUlvE_clEvENKUlvE0_clEvENKUlvE_clEvEUlmmE0_ZZZNS0_20_philox_normal_cuda_ES4_S6_ddENKS7_clEvENKS8_clEvEUlfE_EEvPT_PKmlT0_T1_.num_vgpr, 18
	.set _ZN2at6native12_GLOBAL__N_124philox_single_key_kernelIfZZZZNS0_20_philox_normal_cuda_ERNS_6TensorERKS3_ddENKUlvE_clEvENKUlvE0_clEvENKUlvE_clEvEUlmmE0_ZZZNS0_20_philox_normal_cuda_ES4_S6_ddENKS7_clEvENKS8_clEvEUlfE_EEvPT_PKmlT0_T1_.num_agpr, 0
	.set _ZN2at6native12_GLOBAL__N_124philox_single_key_kernelIfZZZZNS0_20_philox_normal_cuda_ERNS_6TensorERKS3_ddENKUlvE_clEvENKUlvE0_clEvENKUlvE_clEvEUlmmE0_ZZZNS0_20_philox_normal_cuda_ES4_S6_ddENKS7_clEvENKS8_clEvEUlfE_EEvPT_PKmlT0_T1_.numbered_sgpr, 24
	.set _ZN2at6native12_GLOBAL__N_124philox_single_key_kernelIfZZZZNS0_20_philox_normal_cuda_ERNS_6TensorERKS3_ddENKUlvE_clEvENKUlvE0_clEvENKUlvE_clEvEUlmmE0_ZZZNS0_20_philox_normal_cuda_ES4_S6_ddENKS7_clEvENKS8_clEvEUlfE_EEvPT_PKmlT0_T1_.num_named_barrier, 0
	.set _ZN2at6native12_GLOBAL__N_124philox_single_key_kernelIfZZZZNS0_20_philox_normal_cuda_ERNS_6TensorERKS3_ddENKUlvE_clEvENKUlvE0_clEvENKUlvE_clEvEUlmmE0_ZZZNS0_20_philox_normal_cuda_ES4_S6_ddENKS7_clEvENKS8_clEvEUlfE_EEvPT_PKmlT0_T1_.private_seg_size, 0
	.set _ZN2at6native12_GLOBAL__N_124philox_single_key_kernelIfZZZZNS0_20_philox_normal_cuda_ERNS_6TensorERKS3_ddENKUlvE_clEvENKUlvE0_clEvENKUlvE_clEvEUlmmE0_ZZZNS0_20_philox_normal_cuda_ES4_S6_ddENKS7_clEvENKS8_clEvEUlfE_EEvPT_PKmlT0_T1_.uses_vcc, 1
	.set _ZN2at6native12_GLOBAL__N_124philox_single_key_kernelIfZZZZNS0_20_philox_normal_cuda_ERNS_6TensorERKS3_ddENKUlvE_clEvENKUlvE0_clEvENKUlvE_clEvEUlmmE0_ZZZNS0_20_philox_normal_cuda_ES4_S6_ddENKS7_clEvENKS8_clEvEUlfE_EEvPT_PKmlT0_T1_.uses_flat_scratch, 0
	.set _ZN2at6native12_GLOBAL__N_124philox_single_key_kernelIfZZZZNS0_20_philox_normal_cuda_ERNS_6TensorERKS3_ddENKUlvE_clEvENKUlvE0_clEvENKUlvE_clEvEUlmmE0_ZZZNS0_20_philox_normal_cuda_ES4_S6_ddENKS7_clEvENKS8_clEvEUlfE_EEvPT_PKmlT0_T1_.has_dyn_sized_stack, 0
	.set _ZN2at6native12_GLOBAL__N_124philox_single_key_kernelIfZZZZNS0_20_philox_normal_cuda_ERNS_6TensorERKS3_ddENKUlvE_clEvENKUlvE0_clEvENKUlvE_clEvEUlmmE0_ZZZNS0_20_philox_normal_cuda_ES4_S6_ddENKS7_clEvENKS8_clEvEUlfE_EEvPT_PKmlT0_T1_.has_recursion, 0
	.set _ZN2at6native12_GLOBAL__N_124philox_single_key_kernelIfZZZZNS0_20_philox_normal_cuda_ERNS_6TensorERKS3_ddENKUlvE_clEvENKUlvE0_clEvENKUlvE_clEvEUlmmE0_ZZZNS0_20_philox_normal_cuda_ES4_S6_ddENKS7_clEvENKS8_clEvEUlfE_EEvPT_PKmlT0_T1_.has_indirect_call, 0
	.section	.AMDGPU.csdata,"",@progbits
; Kernel info:
; codeLenInByte = 3372
; TotalNumSgprs: 26
; NumVgprs: 18
; ScratchSize: 0
; MemoryBound: 0
; FloatMode: 240
; IeeeMode: 1
; LDSByteSize: 16384 bytes/workgroup (compile time only)
; SGPRBlocks: 0
; VGPRBlocks: 1
; NumSGPRsForWavesPerEU: 26
; NumVGPRsForWavesPerEU: 18
; NamedBarCnt: 0
; Occupancy: 16
; WaveLimiterHint : 0
; COMPUTE_PGM_RSRC2:SCRATCH_EN: 0
; COMPUTE_PGM_RSRC2:USER_SGPR: 4
; COMPUTE_PGM_RSRC2:TRAP_HANDLER: 0
; COMPUTE_PGM_RSRC2:TGID_X_EN: 1
; COMPUTE_PGM_RSRC2:TGID_Y_EN: 0
; COMPUTE_PGM_RSRC2:TGID_Z_EN: 0
; COMPUTE_PGM_RSRC2:TIDIG_COMP_CNT: 2
	.section	.text._ZN2at6native12_GLOBAL__N_123philox_multi_key_kernelIfZZZZNS0_20_philox_normal_cuda_ERNS_6TensorERKS3_ddENKUlvE_clEvENKUlvE0_clEvENKUlvE_clEvEUlmmE0_ZZZNS0_20_philox_normal_cuda_ES4_S6_ddENKS7_clEvENKS8_clEvEUlfE_EEvPT_PKmllT0_T1_16OffsetCalculatorILi1EjLb0EE,"axG",@progbits,_ZN2at6native12_GLOBAL__N_123philox_multi_key_kernelIfZZZZNS0_20_philox_normal_cuda_ERNS_6TensorERKS3_ddENKUlvE_clEvENKUlvE0_clEvENKUlvE_clEvEUlmmE0_ZZZNS0_20_philox_normal_cuda_ES4_S6_ddENKS7_clEvENKS8_clEvEUlfE_EEvPT_PKmllT0_T1_16OffsetCalculatorILi1EjLb0EE,comdat
	.globl	_ZN2at6native12_GLOBAL__N_123philox_multi_key_kernelIfZZZZNS0_20_philox_normal_cuda_ERNS_6TensorERKS3_ddENKUlvE_clEvENKUlvE0_clEvENKUlvE_clEvEUlmmE0_ZZZNS0_20_philox_normal_cuda_ES4_S6_ddENKS7_clEvENKS8_clEvEUlfE_EEvPT_PKmllT0_T1_16OffsetCalculatorILi1EjLb0EE ; -- Begin function _ZN2at6native12_GLOBAL__N_123philox_multi_key_kernelIfZZZZNS0_20_philox_normal_cuda_ERNS_6TensorERKS3_ddENKUlvE_clEvENKUlvE0_clEvENKUlvE_clEvEUlmmE0_ZZZNS0_20_philox_normal_cuda_ES4_S6_ddENKS7_clEvENKS8_clEvEUlfE_EEvPT_PKmllT0_T1_16OffsetCalculatorILi1EjLb0EE
	.p2align	8
	.type	_ZN2at6native12_GLOBAL__N_123philox_multi_key_kernelIfZZZZNS0_20_philox_normal_cuda_ERNS_6TensorERKS3_ddENKUlvE_clEvENKUlvE0_clEvENKUlvE_clEvEUlmmE0_ZZZNS0_20_philox_normal_cuda_ES4_S6_ddENKS7_clEvENKS8_clEvEUlfE_EEvPT_PKmllT0_T1_16OffsetCalculatorILi1EjLb0EE,@function
_ZN2at6native12_GLOBAL__N_123philox_multi_key_kernelIfZZZZNS0_20_philox_normal_cuda_ERNS_6TensorERKS3_ddENKUlvE_clEvENKUlvE0_clEvENKUlvE_clEvEUlmmE0_ZZZNS0_20_philox_normal_cuda_ES4_S6_ddENKS7_clEvENKS8_clEvEUlfE_EEvPT_PKmllT0_T1_16OffsetCalculatorILi1EjLb0EE: ; @_ZN2at6native12_GLOBAL__N_123philox_multi_key_kernelIfZZZZNS0_20_philox_normal_cuda_ERNS_6TensorERKS3_ddENKUlvE_clEvENKUlvE0_clEvENKUlvE_clEvEUlmmE0_ZZZNS0_20_philox_normal_cuda_ES4_S6_ddENKS7_clEvENKS8_clEvEUlfE_EEvPT_PKmllT0_T1_16OffsetCalculatorILi1EjLb0EE
; %bb.0:
	s_clause 0x1
	s_load_b128 s[4:7], s[0:1], 0x10
	s_load_b32 s10, s[0:1], 0x13c
	s_bfe_u32 s2, ttmp6, 0x4000c
	v_mov_b32_e32 v4, 0
	s_add_co_i32 s2, s2, 1
	s_mov_b32 s3, 0
	s_mul_i32 s15, ttmp9, s2
	s_and_b32 s11, ttmp6, 15
	s_getreg_b32 s14, hwreg(HW_REG_IB_STS2, 6, 4)
	v_mov_b32_e32 v1, v4
	s_add_co_i32 s11, s11, s15
	s_wait_kmcnt 0x0
	s_add_nc_u64 s[8:9], s[6:7], 3
	s_delay_alu instid0(SALU_CYCLE_1) | instskip(NEXT) | instid1(SALU_CYCLE_1)
	s_ashr_i32 s12, s9, 31
	s_lshr_b32 s2, s12, 30
	s_delay_alu instid0(SALU_CYCLE_1) | instskip(SKIP_4) | instid1(SALU_CYCLE_1)
	s_add_nc_u64 s[2:3], s[8:9], s[2:3]
	s_and_b32 s8, s10, 0xffff
	s_ashr_i64 s[12:13], s[2:3], 2
	s_cmp_eq_u32 s14, 0
	s_cselect_b32 s2, ttmp9, s11
	v_mad_nc_u64_u32 v[2:3], s8, s2, v[0:1]
	s_mul_u64 s[2:3], s[12:13], s[4:5]
	s_delay_alu instid0(VALU_DEP_1) | instid1(SALU_CYCLE_1)
	v_cmp_gt_i64_e32 vcc_lo, s[2:3], v[2:3]
	s_and_saveexec_b32 s2, vcc_lo
	s_cbranch_execz .LBB11_22
; %bb.1:
	v_or_b32_e32 v5, s13, v3
                                        ; implicit-def: $vgpr0_vgpr1
	s_mov_b32 s2, exec_lo
	s_delay_alu instid0(VALU_DEP_1)
	v_cmpx_ne_u64_e32 0, v[4:5]
	s_xor_b32 s3, exec_lo, s2
	s_cbranch_execz .LBB11_3
; %bb.2:
	s_ashr_i32 s4, s13, 31
	s_mov_b32 s19, 0
	s_mov_b32 s5, s4
	v_dual_mov_b32 v7, 0 :: v_dual_ashrrev_i32 v0, 31, v3
	s_add_nc_u64 s[8:9], s[12:13], s[4:5]
	s_delay_alu instid0(SALU_CYCLE_1) | instskip(NEXT) | instid1(VALU_DEP_1)
	s_xor_b64 s[8:9], s[8:9], s[4:5]
	v_dual_mov_b32 v1, v0 :: v_dual_mov_b32 v9, v7
	s_cvt_f32_u32 s2, s8
	s_cvt_f32_u32 s5, s9
	s_sub_nc_u64 s[14:15], 0, s[8:9]
	s_delay_alu instid0(VALU_DEP_1) | instskip(SKIP_2) | instid1(SALU_CYCLE_3)
	v_add_nc_u64_e32 v[4:5], v[2:3], v[0:1]
	v_mov_b32_e32 v15, v7
	s_fmamk_f32 s2, s5, 0x4f800000, s2
	v_s_rcp_f32 s2, s2
	s_delay_alu instid0(VALU_DEP_2) | instskip(NEXT) | instid1(VALU_DEP_3)
	v_xor_b32_e32 v6, v4, v0
	v_xor_b32_e32 v8, v5, v0
	;; [unrolled: 1-line block ×3, first 2 shown]
	s_delay_alu instid0(TRANS32_DEP_1) | instskip(NEXT) | instid1(SALU_CYCLE_3)
	s_mul_f32 s2, s2, 0x5f7ffffc
	s_mul_f32 s5, s2, 0x2f800000
	s_delay_alu instid0(SALU_CYCLE_3) | instskip(NEXT) | instid1(SALU_CYCLE_3)
	s_trunc_f32 s5, s5
	s_fmamk_f32 s2, s5, 0xcf800000, s2
	s_cvt_u32_f32 s11, s5
	s_delay_alu instid0(SALU_CYCLE_2) | instskip(NEXT) | instid1(SALU_CYCLE_3)
	s_cvt_u32_f32 s10, s2
	s_mul_u64 s[16:17], s[14:15], s[10:11]
	s_delay_alu instid0(SALU_CYCLE_1)
	s_mul_hi_u32 s21, s10, s17
	s_mul_i32 s20, s10, s17
	s_mul_hi_u32 s18, s10, s16
	s_mul_i32 s5, s11, s16
	s_add_nc_u64 s[20:21], s[18:19], s[20:21]
	s_mul_hi_u32 s2, s11, s16
	s_mul_hi_u32 s22, s11, s17
	s_add_co_u32 s5, s20, s5
	s_add_co_ci_u32 s18, s21, s2
	s_mul_i32 s16, s11, s17
	s_add_co_ci_u32 s17, s22, 0
	s_delay_alu instid0(SALU_CYCLE_1) | instskip(NEXT) | instid1(SALU_CYCLE_1)
	s_add_nc_u64 s[16:17], s[18:19], s[16:17]
	s_add_co_u32 s10, s10, s16
	s_cselect_b32 s2, -1, 0
	s_delay_alu instid0(SALU_CYCLE_1) | instskip(SKIP_1) | instid1(SALU_CYCLE_1)
	s_cmp_lg_u32 s2, 0
	s_add_co_ci_u32 s11, s11, s17
	s_mul_u64 s[14:15], s[14:15], s[10:11]
	s_delay_alu instid0(SALU_CYCLE_1)
	s_mul_hi_u32 s17, s10, s15
	s_mul_i32 s16, s10, s15
	s_mul_hi_u32 s18, s10, s14
	s_mul_i32 s5, s11, s14
	s_add_nc_u64 s[16:17], s[18:19], s[16:17]
	s_mul_hi_u32 s2, s11, s14
	s_mul_hi_u32 s20, s11, s15
	s_add_co_u32 s5, s16, s5
	s_add_co_ci_u32 s18, s17, s2
	s_mul_i32 s14, s11, s15
	s_add_co_ci_u32 s15, s20, 0
	s_delay_alu instid0(SALU_CYCLE_1) | instskip(NEXT) | instid1(SALU_CYCLE_1)
	s_add_nc_u64 s[14:15], s[18:19], s[14:15]
	s_add_co_u32 s2, s10, s14
	s_cselect_b32 s5, -1, 0
	v_mul_hi_u32 v14, v6, s2
	s_cmp_lg_u32 s5, 0
	s_add_co_ci_u32 s18, s11, s15
	s_mov_b64 s[10:11], 0xffffffff
	v_mul_u64_e32 v[10:11], s[18:19], v[6:7]
	s_and_b64 s[10:11], s[2:3], s[10:11]
	v_mul_u64_e32 v[12:13], s[18:19], v[8:9]
	v_mul_u64_e32 v[4:5], s[10:11], v[8:9]
	s_delay_alu instid0(VALU_DEP_3) | instskip(NEXT) | instid1(VALU_DEP_1)
	v_add_nc_u64_e32 v[10:11], v[14:15], v[10:11]
	v_add_co_u32 v1, vcc_lo, v10, v4
	s_delay_alu instid0(VALU_DEP_2) | instskip(SKIP_1) | instid1(VALU_DEP_1)
	v_add_co_ci_u32_e32 v14, vcc_lo, v11, v5, vcc_lo
	v_add_co_ci_u32_e32 v13, vcc_lo, 0, v13, vcc_lo
	v_add_nc_u64_e32 v[4:5], v[14:15], v[12:13]
	s_delay_alu instid0(VALU_DEP_1) | instskip(NEXT) | instid1(VALU_DEP_1)
	v_mul_u64_e32 v[10:11], s[8:9], v[4:5]
	v_sub_nc_u32_e32 v1, v8, v11
	s_delay_alu instid0(VALU_DEP_2) | instskip(NEXT) | instid1(VALU_DEP_1)
	v_sub_co_u32 v6, vcc_lo, v6, v10
	v_sub_co_ci_u32_e64 v10, null, v8, v11, vcc_lo
	s_delay_alu instid0(VALU_DEP_3) | instskip(NEXT) | instid1(VALU_DEP_3)
	v_subrev_co_ci_u32_e64 v1, null, s9, v1, vcc_lo
	v_sub_co_u32 v7, s2, v6, s8
	s_delay_alu instid0(VALU_DEP_1) | instskip(NEXT) | instid1(VALU_DEP_2)
	v_subrev_co_ci_u32_e64 v1, null, 0, v1, s2
	v_cmp_le_u32_e32 vcc_lo, s8, v7
	v_cndmask_b32_e64 v7, 0, -1, vcc_lo
	s_delay_alu instid0(VALU_DEP_3)
	v_cmp_le_u32_e32 vcc_lo, s9, v1
	v_cndmask_b32_e64 v8, 0, -1, vcc_lo
	v_cmp_le_u32_e32 vcc_lo, s8, v6
	v_cndmask_b32_e64 v11, 0, -1, vcc_lo
	v_cmp_le_u32_e32 vcc_lo, s9, v10
	v_cndmask_b32_e64 v12, 0, -1, vcc_lo
	v_cmp_eq_u32_e32 vcc_lo, s9, v1
	v_cndmask_b32_e32 v1, v8, v7, vcc_lo
	v_cmp_eq_u32_e32 vcc_lo, s9, v10
	v_add_nc_u64_e32 v[6:7], 2, v[4:5]
	v_add_nc_u64_e32 v[8:9], 1, v[4:5]
	v_cndmask_b32_e32 v10, v12, v11, vcc_lo
	v_cmp_ne_u32_e32 vcc_lo, 0, v1
	s_delay_alu instid0(VALU_DEP_2) | instskip(NEXT) | instid1(VALU_DEP_4)
	v_cmp_ne_u32_e64 s2, 0, v10
	v_dual_cndmask_b32 v6, v8, v6 :: v_dual_cndmask_b32 v1, v9, v7
	s_delay_alu instid0(VALU_DEP_1) | instskip(SKIP_1) | instid1(VALU_DEP_2)
	v_dual_cndmask_b32 v4, v4, v6, s2 :: v_dual_cndmask_b32 v5, v5, v1, s2
	v_mov_b32_e32 v1, v0
	v_xor_b32_e32 v4, v4, v0
	s_delay_alu instid0(VALU_DEP_3) | instskip(NEXT) | instid1(VALU_DEP_1)
	v_xor_b32_e32 v5, v5, v0
	v_sub_nc_u64_e32 v[0:1], v[4:5], v[0:1]
.LBB11_3:
	s_and_not1_saveexec_b32 s2, s3
	s_cbranch_execz .LBB11_5
; %bb.4:
	v_cvt_f32_u32_e32 v0, s12
	s_sub_co_i32 s3, 0, s12
	s_delay_alu instid0(VALU_DEP_1) | instskip(SKIP_1) | instid1(TRANS32_DEP_1)
	v_rcp_iflag_f32_e32 v0, v0
	v_nop
	v_mul_f32_e32 v0, 0x4f7ffffe, v0
	s_delay_alu instid0(VALU_DEP_1) | instskip(NEXT) | instid1(VALU_DEP_1)
	v_cvt_u32_f32_e32 v0, v0
	v_mul_lo_u32 v1, s3, v0
	s_delay_alu instid0(VALU_DEP_1) | instskip(NEXT) | instid1(VALU_DEP_1)
	v_mul_hi_u32 v1, v0, v1
	v_add_nc_u32_e32 v0, v0, v1
	s_delay_alu instid0(VALU_DEP_1) | instskip(NEXT) | instid1(VALU_DEP_1)
	v_mul_hi_u32 v0, v2, v0
	v_mul_lo_u32 v1, v0, s12
	s_delay_alu instid0(VALU_DEP_1) | instskip(NEXT) | instid1(VALU_DEP_1)
	v_sub_nc_u32_e32 v1, v2, v1
	v_subrev_nc_u32_e32 v5, s12, v1
	v_cmp_le_u32_e32 vcc_lo, s12, v1
	s_delay_alu instid0(VALU_DEP_2) | instskip(NEXT) | instid1(VALU_DEP_1)
	v_dual_cndmask_b32 v1, v1, v5 :: v_dual_add_nc_u32 v4, 1, v0
	v_cndmask_b32_e32 v0, v0, v4, vcc_lo
	s_delay_alu instid0(VALU_DEP_2) | instskip(NEXT) | instid1(VALU_DEP_2)
	v_cmp_le_u32_e32 vcc_lo, s12, v1
	v_dual_mov_b32 v1, 0 :: v_dual_add_nc_u32 v4, 1, v0
	s_delay_alu instid0(VALU_DEP_1)
	v_cndmask_b32_e32 v0, v0, v4, vcc_lo
.LBB11_5:
	s_or_b32 exec_lo, exec_lo, s2
	s_clause 0x1
	s_load_b96 s[8:10], s[0:1], 0x24
	s_load_b64 s[2:3], s[0:1], 0x8
	s_add_nc_u64 s[4:5], s[0:1], 44
	s_mov_b32 s11, -1
                                        ; implicit-def: $vgpr6
	s_wait_kmcnt 0x0
	s_add_co_i32 s14, s10, -1
	s_delay_alu instid0(SALU_CYCLE_1)
	s_cmp_lt_u32 s14, 2
	s_cbranch_scc1 .LBB11_15
; %bb.6:
	s_cmp_lg_u32 s10, 0
	s_mov_b32 s11, 0
	s_cbranch_scc0 .LBB11_11
; %bb.7:
	s_min_u32 s15, s14, 15
	s_delay_alu instid0(SALU_CYCLE_1)
	s_add_co_i32 s15, s15, 1
	s_cmp_eq_u32 s14, 2
	s_cbranch_scc1 .LBB11_12
; %bb.8:
	v_dual_mov_b32 v6, 0 :: v_dual_mov_b32 v4, v0
	s_and_b32 s14, s15, 28
	s_add_nc_u64 s[16:17], s[4:5], 0xc4
	s_mov_b32 s20, 0
	s_mov_b64 s[18:19], s[4:5]
.LBB11_9:                               ; =>This Inner Loop Header: Depth=1
	s_clause 0x1
	s_load_b256 s[24:31], s[18:19], 0x4
	s_load_b128 s[36:39], s[18:19], 0x24
	s_load_b128 s[40:43], s[16:17], 0x0
	s_add_co_i32 s20, s20, 4
	s_wait_xcnt 0x0
	s_add_nc_u64 s[18:19], s[18:19], 48
	s_cmp_lg_u32 s14, s20
	s_add_nc_u64 s[16:17], s[16:17], 16
	s_wait_kmcnt 0x0
	v_mul_hi_u32 v5, s25, v4
	s_delay_alu instid0(VALU_DEP_1) | instskip(NEXT) | instid1(VALU_DEP_1)
	v_add_nc_u32_e32 v5, v4, v5
	v_lshrrev_b32_e32 v5, s26, v5
	s_delay_alu instid0(VALU_DEP_1) | instskip(NEXT) | instid1(VALU_DEP_1)
	v_mul_hi_u32 v7, s28, v5
	v_add_nc_u32_e32 v7, v5, v7
	s_delay_alu instid0(VALU_DEP_1) | instskip(NEXT) | instid1(VALU_DEP_1)
	v_lshrrev_b32_e32 v7, s29, v7
	v_mul_hi_u32 v8, s31, v7
	s_delay_alu instid0(VALU_DEP_1) | instskip(SKIP_1) | instid1(VALU_DEP_2)
	v_add_nc_u32_e32 v8, v7, v8
	v_mul_lo_u32 v9, v5, s24
	v_lshrrev_b32_e32 v8, s36, v8
	s_delay_alu instid0(VALU_DEP_1) | instskip(NEXT) | instid1(VALU_DEP_3)
	v_mul_hi_u32 v10, s38, v8
	v_sub_nc_u32_e32 v4, v4, v9
	v_mul_lo_u32 v9, v7, s27
	s_delay_alu instid0(VALU_DEP_1) | instskip(NEXT) | instid1(VALU_DEP_3)
	v_sub_nc_u32_e32 v5, v5, v9
	v_mad_u32 v4, v4, s40, v6
	v_mul_lo_u32 v6, v8, s30
	v_add_nc_u32_e32 v9, v8, v10
	s_delay_alu instid0(VALU_DEP_3) | instskip(NEXT) | instid1(VALU_DEP_2)
	v_mad_u32 v5, v5, s41, v4
	v_dual_lshrrev_b32 v4, s39, v9 :: v_dual_sub_nc_u32 v6, v7, v6
	s_delay_alu instid0(VALU_DEP_1) | instskip(NEXT) | instid1(VALU_DEP_2)
	v_mul_lo_u32 v7, v4, s37
	v_mad_u32 v5, v6, s42, v5
	s_delay_alu instid0(VALU_DEP_2) | instskip(NEXT) | instid1(VALU_DEP_1)
	v_sub_nc_u32_e32 v6, v8, v7
	v_mad_u32 v6, v6, s43, v5
	s_cbranch_scc1 .LBB11_9
; %bb.10:
	s_and_b32 s18, s15, 3
	s_mov_b32 s15, 0
	s_cmp_eq_u32 s18, 0
	s_cbranch_scc0 .LBB11_13
	s_branch .LBB11_15
.LBB11_11:
	v_mov_b32_e32 v6, 0
	s_branch .LBB11_15
.LBB11_12:
	v_dual_mov_b32 v6, 0 :: v_dual_mov_b32 v4, v0
	s_mov_b32 s14, 0
	s_and_b32 s18, s15, 3
	s_mov_b32 s15, 0
	s_cmp_eq_u32 s18, 0
	s_cbranch_scc1 .LBB11_15
.LBB11_13:
	s_lshl_b32 s16, s14, 2
	s_mov_b32 s17, s15
	s_mul_u64 s[20:21], s[14:15], 12
	s_add_nc_u64 s[16:17], s[4:5], s[16:17]
	s_delay_alu instid0(SALU_CYCLE_1)
	s_add_nc_u64 s[14:15], s[16:17], 0xc4
	s_add_nc_u64 s[16:17], s[4:5], s[20:21]
.LBB11_14:                              ; =>This Inner Loop Header: Depth=1
	s_load_b96 s[20:22], s[16:17], 0x4
	s_load_b32 s19, s[14:15], 0x0
	s_add_co_i32 s18, s18, -1
	s_wait_xcnt 0x0
	s_add_nc_u64 s[16:17], s[16:17], 12
	s_cmp_lg_u32 s18, 0
	s_add_nc_u64 s[14:15], s[14:15], 4
	s_wait_kmcnt 0x0
	v_mul_hi_u32 v5, s21, v4
	s_delay_alu instid0(VALU_DEP_1) | instskip(NEXT) | instid1(VALU_DEP_1)
	v_add_nc_u32_e32 v5, v4, v5
	v_lshrrev_b32_e32 v5, s22, v5
	s_delay_alu instid0(VALU_DEP_1) | instskip(NEXT) | instid1(VALU_DEP_1)
	v_mul_lo_u32 v7, v5, s20
	v_sub_nc_u32_e32 v4, v4, v7
	s_delay_alu instid0(VALU_DEP_1)
	v_mad_u32 v6, v4, s19, v6
	v_mov_b32_e32 v4, v5
	s_cbranch_scc1 .LBB11_14
.LBB11_15:
	s_and_not1_b32 vcc_lo, exec_lo, s11
	s_cbranch_vccnz .LBB11_18
; %bb.16:
	s_clause 0x1
	s_load_b96 s[16:18], s[4:5], 0x4
	s_load_b32 s11, s[4:5], 0xc4
	v_dual_mov_b32 v5, 0 :: v_dual_mov_b32 v4, v0
	s_mov_b32 s15, 0
	s_cmp_lt_u32 s10, 2
	s_wait_kmcnt 0x0
	s_mov_b32 s14, s17
	s_delay_alu instid0(SALU_CYCLE_1) | instskip(NEXT) | instid1(VALU_DEP_1)
	v_mul_u64_e32 v[4:5], s[14:15], v[4:5]
	v_add_nc_u32_e32 v4, v5, v0
	s_delay_alu instid0(VALU_DEP_1) | instskip(NEXT) | instid1(VALU_DEP_1)
	v_lshrrev_b32_e32 v4, s18, v4
	v_mul_lo_u32 v5, v4, s16
	s_delay_alu instid0(VALU_DEP_1) | instskip(NEXT) | instid1(VALU_DEP_1)
	v_sub_nc_u32_e32 v5, v0, v5
	v_mul_lo_u32 v6, v5, s11
	s_cbranch_scc1 .LBB11_18
; %bb.17:
	s_clause 0x1
	s_load_b96 s[16:18], s[4:5], 0x10
	s_load_b32 s10, s[4:5], 0xc8
	s_wait_kmcnt 0x0
	v_mul_hi_u32 v5, s17, v4
	s_delay_alu instid0(VALU_DEP_1) | instskip(NEXT) | instid1(VALU_DEP_1)
	v_add_nc_u32_e32 v5, v4, v5
	v_lshrrev_b32_e32 v5, s18, v5
	s_delay_alu instid0(VALU_DEP_1) | instskip(NEXT) | instid1(VALU_DEP_1)
	v_mul_lo_u32 v5, v5, s16
	v_sub_nc_u32_e32 v4, v4, v5
	s_delay_alu instid0(VALU_DEP_1)
	v_mad_u32 v6, v4, s10, v6
.LBB11_18:
	s_delay_alu instid0(VALU_DEP_1)
	v_add_nc_u32_e32 v7, 1, v6
	s_mov_b64 s[4:5], 0xcd9e8d57
	s_mov_b32 s14, 0x2f800000
	s_mov_b32 s11, 0
	s_clause 0x1
	global_load_b64 v[8:9], v7, s[2:3] scale_offset
	global_load_b64 v[4:5], v6, s[2:3] scale_offset
	s_wait_xcnt 0x0
	v_mul_u64_e32 v[6:7], s[12:13], v[0:1]
	s_mov_b64 s[2:3], 0xd2511f53
	s_delay_alu instid0(VALU_DEP_1) | instskip(SKIP_1) | instid1(VALU_DEP_1)
	v_sub_nc_u64_e32 v[2:3], v[2:3], v[6:7]
	s_wait_loadcnt 0x1
	v_add_nc_u64_e32 v[6:7], v[8:9], v[2:3]
	v_mov_b32_e32 v9, 0
	s_delay_alu instid0(VALU_DEP_1) | instskip(SKIP_1) | instid1(VALU_DEP_3)
	v_dual_mov_b32 v13, v9 :: v_dual_mov_b32 v8, v6
	s_wait_loadcnt 0x0
	v_xor_b32_e32 v12, v7, v4
	v_mul_lo_u32 v6, 0xd2511f53, v6
	v_add_nc_u32_e32 v7, 0x9e3779b9, v4
	v_mul_u64_e32 v[10:11], s[2:3], v[8:9]
	s_delay_alu instid0(VALU_DEP_4) | instskip(SKIP_1) | instid1(VALU_DEP_3)
	v_mul_u64_e32 v[14:15], s[2:3], v[12:13]
	v_add_nc_u32_e32 v13, 0x3c6ef372, v4
	v_xor_b32_e32 v8, v11, v5
	s_delay_alu instid0(VALU_DEP_1) | instskip(SKIP_2) | instid1(VALU_DEP_2)
	v_mul_u64_e32 v[10:11], s[4:5], v[8:9]
	v_add_nc_u32_e32 v9, 0xbb67ae85, v5
	v_mul_lo_u32 v8, 0xcd9e8d57, v8
	v_xor3_b32 v6, v6, v9, v15
	v_mul_lo_u32 v9, 0xd2511f53, v12
	v_add_nc_u32_e32 v12, 0x76cf5d0a, v5
	v_xor_b32_e32 v7, v7, v11
	s_delay_alu instid0(VALU_DEP_4) | instskip(SKIP_1) | instid1(VALU_DEP_3)
	v_mul_hi_u32 v11, 0xcd9e8d57, v6
	v_mul_lo_u32 v6, 0xcd9e8d57, v6
	v_mul_hi_u32 v10, 0xd2511f53, v7
	v_mul_lo_u32 v7, 0xd2511f53, v7
	s_delay_alu instid0(VALU_DEP_4) | instskip(SKIP_1) | instid1(VALU_DEP_4)
	v_xor3_b32 v8, v8, v13, v11
	v_add_nc_u32_e32 v13, 0x32370b8f, v5
	v_xor3_b32 v9, v9, v12, v10
	s_delay_alu instid0(VALU_DEP_3) | instskip(SKIP_2) | instid1(VALU_DEP_4)
	v_mul_hi_u32 v11, 0xd2511f53, v8
	v_add_nc_u32_e32 v12, 0xdaa66d2b, v4
	v_mul_lo_u32 v8, 0xd2511f53, v8
	v_mul_hi_u32 v10, 0xcd9e8d57, v9
	v_mul_lo_u32 v9, 0xcd9e8d57, v9
	v_xor3_b32 v7, v7, v13, v11
	v_add_nc_u32_e32 v13, 0x78dde6e4, v4
	s_delay_alu instid0(VALU_DEP_4) | instskip(NEXT) | instid1(VALU_DEP_3)
	v_xor3_b32 v6, v6, v12, v10
	v_mul_hi_u32 v11, 0xcd9e8d57, v7
	v_add_nc_u32_e32 v12, 0xed9eba14, v5
	v_mul_lo_u32 v7, 0xcd9e8d57, v7
	s_delay_alu instid0(VALU_DEP_4) | instskip(SKIP_3) | instid1(VALU_DEP_4)
	v_mul_hi_u32 v10, 0xd2511f53, v6
	v_mul_lo_u32 v6, 0xd2511f53, v6
	v_xor3_b32 v9, v9, v13, v11
	v_add_nc_u32_e32 v13, 0xa9066899, v5
	v_xor3_b32 v8, v8, v12, v10
	s_delay_alu instid0(VALU_DEP_3) | instskip(SKIP_2) | instid1(VALU_DEP_4)
	v_mul_hi_u32 v11, 0xd2511f53, v9
	v_add_nc_u32_e32 v12, 0x1715609d, v4
	v_mul_lo_u32 v9, 0xd2511f53, v9
	v_mul_hi_u32 v10, 0xcd9e8d57, v8
	v_mul_lo_u32 v8, 0xcd9e8d57, v8
	v_xor3_b32 v6, v6, v13, v11
	v_add_nc_u32_e32 v13, 0xb54cda56, v4
	s_delay_alu instid0(VALU_DEP_4) | instskip(NEXT) | instid1(VALU_DEP_3)
	v_xor3_b32 v7, v7, v12, v10
	v_mul_hi_u32 v11, 0xcd9e8d57, v6
	v_add_nc_u32_e32 v12, 0x646e171e, v5
	v_mul_lo_u32 v6, 0xcd9e8d57, v6
	s_delay_alu instid0(VALU_DEP_4) | instskip(SKIP_3) | instid1(VALU_DEP_4)
	v_mul_hi_u32 v10, 0xd2511f53, v7
	v_mul_lo_u32 v7, 0xd2511f53, v7
	v_xor3_b32 v8, v8, v13, v11
	v_add_nc_u32_e32 v13, 0x1fd5c5a3, v5
	v_xor3_b32 v9, v9, v12, v10
	s_delay_alu instid0(VALU_DEP_3) | instskip(SKIP_2) | instid1(VALU_DEP_4)
	v_mul_hi_u32 v11, 0xd2511f53, v8
	v_add_nc_u32_e32 v12, 0x5384540f, v4
	v_mul_lo_u32 v8, 0xd2511f53, v8
	v_mul_hi_u32 v10, 0xcd9e8d57, v9
	v_mul_lo_u32 v9, 0xcd9e8d57, v9
	v_xor3_b32 v7, v7, v13, v11
	v_add_nc_u32_e32 v13, 0xf1bbcdc8, v4
	v_add_nc_u32_e32 v4, 0x8ff34781, v4
	v_xor3_b32 v6, v6, v12, v10
	s_delay_alu instid0(VALU_DEP_4)
	v_mul_hi_u32 v11, 0xcd9e8d57, v7
	v_add_nc_u32_e32 v12, 0xdb3d7428, v5
	v_mul_lo_u32 v7, 0xcd9e8d57, v7
	v_add_nc_u32_e32 v5, 0x96a522ad, v5
	v_mul_hi_u32 v10, 0xd2511f53, v6
	v_mul_lo_u32 v6, 0xd2511f53, v6
	v_xor3_b32 v9, v9, v13, v11
	s_delay_alu instid0(VALU_DEP_3) | instskip(NEXT) | instid1(VALU_DEP_2)
	v_xor3_b32 v8, v8, v12, v10
	v_mul_hi_u32 v11, 0xd2511f53, v9
	v_mul_lo_u32 v9, 0xd2511f53, v9
	s_delay_alu instid0(VALU_DEP_3) | instskip(SKIP_1) | instid1(VALU_DEP_4)
	v_mul_hi_u32 v10, 0xcd9e8d57, v8
	v_mul_lo_u32 v8, 0xcd9e8d57, v8
	v_xor3_b32 v5, v6, v5, v11
	s_delay_alu instid0(VALU_DEP_4) | instskip(NEXT) | instid1(VALU_DEP_4)
	v_cvt_f32_u32_e32 v9, v9
	v_xor3_b32 v4, v7, v4, v10
	s_delay_alu instid0(VALU_DEP_3) | instskip(SKIP_1) | instid1(VALU_DEP_3)
	v_cvt_f32_u32_e32 v5, v5
	v_cvt_f32_u32_e32 v8, v8
	;; [unrolled: 1-line block ×3, first 2 shown]
	s_delay_alu instid0(VALU_DEP_2) | instskip(NEXT) | instid1(VALU_DEP_2)
	v_dual_fmaak_f32 v5, s14, v5, 0x2f000000 :: v_dual_fmaak_f32 v8, s14, v8, 0x2f000000
	v_fmaak_f32 v4, s14, v4, 0x2f000000
	s_delay_alu instid0(VALU_DEP_2) | instskip(NEXT) | instid1(VALU_DEP_2)
	v_cmp_gt_f32_e64 s2, 0x800000, v5
	v_cmp_gt_f32_e32 vcc_lo, 0x800000, v4
	s_delay_alu instid0(VALU_DEP_2)
	v_cndmask_b32_e64 v7, 0, 32, s2
	v_cndmask_b32_e64 v10, 0, 0x41b17218, s2
	s_and_b64 s[2:3], s[6:7], 3
	v_cndmask_b32_e64 v6, 0, 32, vcc_lo
	v_cndmask_b32_e64 v11, 0, 0x41b17218, vcc_lo
	s_cmp_lg_u64 s[2:3], 0
	v_ldexp_f32 v5, v5, v7
	s_cselect_b32 s3, -1, 0
	v_ldexp_f32 v4, v4, v6
	s_ashr_i32 s4, s7, 31
	s_delay_alu instid0(SALU_CYCLE_1) | instskip(SKIP_1) | instid1(VALU_DEP_1)
	s_lshr_b32 s10, s4, 30
	s_load_b64 s[4:5], s[0:1], 0x0
	v_log_f32_e32 v4, v4
	v_log_f32_e32 v5, v5
	s_add_nc_u64 s[12:13], s[6:7], s[10:11]
	v_nop
	s_delay_alu instid0(TRANS32_DEP_1) | instskip(SKIP_1) | instid1(VALU_DEP_2)
	v_dual_mul_f32 v6, 0x3f317217, v4 :: v_dual_mul_f32 v7, 0x3f317217, v5
	v_cmp_gt_f32_e64 vcc_lo, 0x7f800000, |v4|
	v_fma_f32 v6, 0x3f317217, v4, -v6
	s_delay_alu instid0(VALU_DEP_3) | instskip(NEXT) | instid1(VALU_DEP_1)
	v_fma_f32 v7, 0x3f317217, v5, -v7
	v_dual_fmac_f32 v6, 0x3377d1cf, v4 :: v_dual_fmac_f32 v7, 0x3377d1cf, v5
	s_delay_alu instid0(VALU_DEP_1) | instskip(NEXT) | instid1(VALU_DEP_1)
	v_dual_fmac_f32 v6, 0x3f317217, v4 :: v_dual_fmac_f32 v7, 0x3f317217, v5
	v_cndmask_b32_e32 v4, v4, v6, vcc_lo
	v_cmp_gt_f32_e64 vcc_lo, 0x7f800000, |v5|
	s_delay_alu instid0(VALU_DEP_2) | instskip(NEXT) | instid1(VALU_DEP_4)
	v_sub_f32_e32 v4, v4, v11
	v_cndmask_b32_e32 v5, v5, v7, vcc_lo
	v_lshlrev_b64_e32 v[6:7], 2, v[2:3]
	s_delay_alu instid0(VALU_DEP_2) | instskip(NEXT) | instid1(VALU_DEP_1)
	v_dual_sub_f32 v5, v5, v10 :: v_dual_mul_f32 v10, -2.0, v4
	v_dual_mul_f32 v11, -2.0, v5 :: v_dual_mul_f32 v12, 0x4f800000, v10
	v_cmp_gt_f32_e32 vcc_lo, 0xf800000, v10
	s_delay_alu instid0(VALU_DEP_4) | instskip(NEXT) | instid1(VALU_DEP_3)
	v_mad_nc_u64_u32 v[4:5], v0, s6, v[6:7]
	v_mul_f32_e32 v13, 0x4f800000, v11
	v_cmp_gt_f32_e64 s2, 0xf800000, v11
	v_cndmask_b32_e32 v10, v10, v12, vcc_lo
	s_delay_alu instid0(VALU_DEP_1) | instskip(NEXT) | instid1(VALU_DEP_2)
	v_sqrt_f32_e32 v12, v10
	v_cndmask_b32_e64 v11, v11, v13, s2
	v_fmaak_f32 v9, s14, v9, 0x2f000000
	v_mad_u32 v1, v1, s6, v5
	s_delay_alu instid0(TRANS32_DEP_1) | instid1(VALU_DEP_2)
	v_dual_mul_f32 v5, 0x40c90fdb, v9 :: v_dual_add_nc_u32 v16, 1, v12
	v_add_nc_u32_e32 v9, -1, v12
	v_sqrt_f32_e32 v13, v11
	v_nop
	s_delay_alu instid0(TRANS32_DEP_1) | instskip(NEXT) | instid1(VALU_DEP_3)
	v_dual_fma_f32 v20, -v16, v12, v10 :: v_dual_add_nc_u32 v14, -1, v13
	v_dual_add_nc_u32 v15, 1, v13 :: v_dual_fma_f32 v17, -v9, v12, v10
	s_delay_alu instid0(VALU_DEP_1) | instskip(SKIP_1) | instid1(VALU_DEP_2)
	v_dual_fma_f32 v18, -v14, v13, v11 :: v_dual_fma_f32 v19, -v15, v13, v11
	s_wait_xcnt 0x0
	v_cmp_ge_f32_e64 s0, 0, v17
	s_delay_alu instid0(VALU_DEP_1) | instskip(NEXT) | instid1(VALU_DEP_3)
	v_cndmask_b32_e64 v9, v12, v9, s0
	v_cmp_ge_f32_e64 s0, 0, v18
	s_delay_alu instid0(VALU_DEP_1) | instskip(SKIP_3) | instid1(VALU_DEP_3)
	v_cndmask_b32_e64 v12, v13, v14, s0
	v_cmp_lt_f32_e64 s0, 0, v20
	v_dual_mul_f32 v13, 0x40c90fdb, v8 :: v_dual_mul_f32 v8, 0.15915494, v5
	v_mad_u32 v5, v0, s7, v1
	v_cndmask_b32_e64 v9, v9, v16, s0
	v_cmp_lt_f32_e64 s0, 0, v19
	s_delay_alu instid0(VALU_DEP_4) | instskip(SKIP_1) | instid1(VALU_DEP_2)
	v_mul_f32_e32 v13, 0.15915494, v13
	v_cos_f32_e32 v16, v8
	v_cndmask_b32_e64 v12, v12, v15, s0
	v_mul_f32_e32 v14, 0x37800000, v9
	s_delay_alu instid0(VALU_DEP_3)
	v_sin_f32_e32 v1, v13
	v_cos_f32_e32 v0, v13
	s_ashr_i64 s[0:1], s[12:13], 2
	v_mul_f32_e32 v15, 0x37800000, v12
	v_cndmask_b32_e32 v9, v9, v14, vcc_lo
	v_cmp_class_f32_e64 vcc_lo, v10, 0x260
	s_delay_alu instid0(VALU_DEP_1) | instskip(SKIP_1) | instid1(VALU_DEP_2)
	v_dual_cndmask_b32 v12, v12, v15, s2 :: v_dual_cndmask_b32 v10, v9, v10, vcc_lo
	v_cmp_class_f32_e64 vcc_lo, v11, 0x260
	v_pk_mul_f32 v[0:1], v[0:1], v[10:11] op_sel_hi:[1,0]
	s_delay_alu instid0(VALU_DEP_3) | instskip(SKIP_1) | instid1(VALU_DEP_2)
	v_cndmask_b32_e32 v9, v12, v11, vcc_lo
	v_cmp_le_i64_e32 vcc_lo, s[0:1], v[2:3]
	v_mul_f32_e32 v10, v16, v9
	s_or_b32 s0, s3, vcc_lo
	s_delay_alu instid0(SALU_CYCLE_1) | instskip(NEXT) | instid1(SALU_CYCLE_1)
	s_and_saveexec_b32 s1, s0
	s_xor_b32 s0, exec_lo, s1
	s_cbranch_execnz .LBB11_23
; %bb.19:
	s_and_not1_saveexec_b32 s0, s0
	s_cbranch_execnz .LBB11_30
.LBB11_20:
	s_or_b32 exec_lo, exec_lo, s0
	s_delay_alu instid0(SALU_CYCLE_1)
	s_and_b32 exec_lo, exec_lo, s11
	s_cbranch_execz .LBB11_22
.LBB11_21:
	v_sin_f32_e32 v0, v8
	v_nop
	s_delay_alu instid0(TRANS32_DEP_1) | instskip(SKIP_2) | instid1(VALU_DEP_2)
	v_mul_f32_e32 v2, v0, v9
	s_wait_kmcnt 0x0
	v_lshl_add_u64 v[0:1], v[4:5], 2, s[4:5]
	v_fma_f32 v2, s9, v2, s8
	global_store_b32 v[0:1], v2, off offset:12
.LBB11_22:
	s_endpgm
.LBB11_23:
	s_mov_b32 s2, 0
	s_mov_b32 s1, exec_lo
	v_cmpx_gt_i64_e64 s[6:7], v[6:7]
	s_cbranch_execz .LBB11_29
; %bb.24:
	v_dual_mov_b32 v13, v7 :: v_dual_bitop2_b32 v12, 1, v6 bitop3:0x54
	s_wait_kmcnt 0x0
	v_lshl_add_u64 v[2:3], v[4:5], 2, s[4:5]
	v_fma_f32 v0, s9, v0, s8
	s_mov_b32 s3, 0
	s_mov_b32 s2, exec_lo
	global_store_b32 v[2:3], v0, off
	s_wait_xcnt 0x0
	v_cmpx_gt_u64_e64 s[6:7], v[12:13]
	s_cbranch_execz .LBB11_28
; %bb.25:
	v_dual_mov_b32 v13, v7 :: v_dual_bitop2_b32 v12, 2, v6 bitop3:0x54
	v_fma_f32 v0, s9, v1, s8
	s_mov_b32 s10, 0
	s_mov_b32 s3, exec_lo
	global_store_b32 v[2:3], v0, off offset:4
	s_wait_xcnt 0x0
	v_cmpx_gt_u64_e64 s[6:7], v[12:13]
	s_xor_b32 s3, exec_lo, s3
	s_cbranch_execz .LBB11_27
; %bb.26:
	v_or_b32_e32 v6, 3, v6
	v_fma_f32 v0, s9, v10, s8
	s_delay_alu instid0(VALU_DEP_2)
	v_cmp_gt_u64_e32 vcc_lo, s[6:7], v[6:7]
	global_store_b32 v[2:3], v0, off offset:8
	s_and_b32 s10, vcc_lo, exec_lo
.LBB11_27:
	s_wait_xcnt 0x0
	s_or_b32 exec_lo, exec_lo, s3
	s_delay_alu instid0(SALU_CYCLE_1)
	s_and_b32 s3, s10, exec_lo
.LBB11_28:
	s_or_b32 exec_lo, exec_lo, s2
	s_delay_alu instid0(SALU_CYCLE_1)
	s_and_b32 s2, s3, exec_lo
.LBB11_29:
	s_or_b32 exec_lo, exec_lo, s1
	s_delay_alu instid0(SALU_CYCLE_1)
	s_and_b32 s11, s2, exec_lo
                                        ; implicit-def: $vgpr10
                                        ; implicit-def: $vgpr0_vgpr1
	s_and_not1_saveexec_b32 s0, s0
	s_cbranch_execz .LBB11_20
.LBB11_30:
	s_mov_b32 s2, s9
	v_fma_f32 v2, s9, v10, s8
	s_wait_kmcnt 0x0
	v_lshl_add_u64 v[6:7], v[4:5], 2, s[4:5]
	v_pk_fma_f32 v[0:1], s[2:3], v[0:1], s[8:9] op_sel_hi:[0,1,0]
	s_or_b32 s11, s11, exec_lo
	global_store_b96 v[6:7], v[0:2], off
	s_wait_xcnt 0x0
	s_or_b32 exec_lo, exec_lo, s0
	s_delay_alu instid0(SALU_CYCLE_1)
	s_and_b32 exec_lo, exec_lo, s11
	s_cbranch_execnz .LBB11_21
	s_branch .LBB11_22
	.section	.rodata,"a",@progbits
	.p2align	6, 0x0
	.amdhsa_kernel _ZN2at6native12_GLOBAL__N_123philox_multi_key_kernelIfZZZZNS0_20_philox_normal_cuda_ERNS_6TensorERKS3_ddENKUlvE_clEvENKUlvE0_clEvENKUlvE_clEvEUlmmE0_ZZZNS0_20_philox_normal_cuda_ES4_S6_ddENKS7_clEvENKS8_clEvEUlfE_EEvPT_PKmllT0_T1_16OffsetCalculatorILi1EjLb0EE
		.amdhsa_group_segment_fixed_size 0
		.amdhsa_private_segment_fixed_size 0
		.amdhsa_kernarg_size 560
		.amdhsa_user_sgpr_count 2
		.amdhsa_user_sgpr_dispatch_ptr 0
		.amdhsa_user_sgpr_queue_ptr 0
		.amdhsa_user_sgpr_kernarg_segment_ptr 1
		.amdhsa_user_sgpr_dispatch_id 0
		.amdhsa_user_sgpr_kernarg_preload_length 0
		.amdhsa_user_sgpr_kernarg_preload_offset 0
		.amdhsa_user_sgpr_private_segment_size 0
		.amdhsa_wavefront_size32 1
		.amdhsa_uses_dynamic_stack 0
		.amdhsa_enable_private_segment 0
		.amdhsa_system_sgpr_workgroup_id_x 1
		.amdhsa_system_sgpr_workgroup_id_y 0
		.amdhsa_system_sgpr_workgroup_id_z 0
		.amdhsa_system_sgpr_workgroup_info 0
		.amdhsa_system_vgpr_workitem_id 0
		.amdhsa_next_free_vgpr 21
		.amdhsa_next_free_sgpr 44
		.amdhsa_named_barrier_count 0
		.amdhsa_reserve_vcc 1
		.amdhsa_float_round_mode_32 0
		.amdhsa_float_round_mode_16_64 0
		.amdhsa_float_denorm_mode_32 3
		.amdhsa_float_denorm_mode_16_64 3
		.amdhsa_fp16_overflow 0
		.amdhsa_memory_ordered 1
		.amdhsa_forward_progress 1
		.amdhsa_inst_pref_size 28
		.amdhsa_round_robin_scheduling 0
		.amdhsa_exception_fp_ieee_invalid_op 0
		.amdhsa_exception_fp_denorm_src 0
		.amdhsa_exception_fp_ieee_div_zero 0
		.amdhsa_exception_fp_ieee_overflow 0
		.amdhsa_exception_fp_ieee_underflow 0
		.amdhsa_exception_fp_ieee_inexact 0
		.amdhsa_exception_int_div_zero 0
	.end_amdhsa_kernel
	.section	.text._ZN2at6native12_GLOBAL__N_123philox_multi_key_kernelIfZZZZNS0_20_philox_normal_cuda_ERNS_6TensorERKS3_ddENKUlvE_clEvENKUlvE0_clEvENKUlvE_clEvEUlmmE0_ZZZNS0_20_philox_normal_cuda_ES4_S6_ddENKS7_clEvENKS8_clEvEUlfE_EEvPT_PKmllT0_T1_16OffsetCalculatorILi1EjLb0EE,"axG",@progbits,_ZN2at6native12_GLOBAL__N_123philox_multi_key_kernelIfZZZZNS0_20_philox_normal_cuda_ERNS_6TensorERKS3_ddENKUlvE_clEvENKUlvE0_clEvENKUlvE_clEvEUlmmE0_ZZZNS0_20_philox_normal_cuda_ES4_S6_ddENKS7_clEvENKS8_clEvEUlfE_EEvPT_PKmllT0_T1_16OffsetCalculatorILi1EjLb0EE,comdat
.Lfunc_end11:
	.size	_ZN2at6native12_GLOBAL__N_123philox_multi_key_kernelIfZZZZNS0_20_philox_normal_cuda_ERNS_6TensorERKS3_ddENKUlvE_clEvENKUlvE0_clEvENKUlvE_clEvEUlmmE0_ZZZNS0_20_philox_normal_cuda_ES4_S6_ddENKS7_clEvENKS8_clEvEUlfE_EEvPT_PKmllT0_T1_16OffsetCalculatorILi1EjLb0EE, .Lfunc_end11-_ZN2at6native12_GLOBAL__N_123philox_multi_key_kernelIfZZZZNS0_20_philox_normal_cuda_ERNS_6TensorERKS3_ddENKUlvE_clEvENKUlvE0_clEvENKUlvE_clEvEUlmmE0_ZZZNS0_20_philox_normal_cuda_ES4_S6_ddENKS7_clEvENKS8_clEvEUlfE_EEvPT_PKmllT0_T1_16OffsetCalculatorILi1EjLb0EE
                                        ; -- End function
	.set _ZN2at6native12_GLOBAL__N_123philox_multi_key_kernelIfZZZZNS0_20_philox_normal_cuda_ERNS_6TensorERKS3_ddENKUlvE_clEvENKUlvE0_clEvENKUlvE_clEvEUlmmE0_ZZZNS0_20_philox_normal_cuda_ES4_S6_ddENKS7_clEvENKS8_clEvEUlfE_EEvPT_PKmllT0_T1_16OffsetCalculatorILi1EjLb0EE.num_vgpr, 21
	.set _ZN2at6native12_GLOBAL__N_123philox_multi_key_kernelIfZZZZNS0_20_philox_normal_cuda_ERNS_6TensorERKS3_ddENKUlvE_clEvENKUlvE0_clEvENKUlvE_clEvEUlmmE0_ZZZNS0_20_philox_normal_cuda_ES4_S6_ddENKS7_clEvENKS8_clEvEUlfE_EEvPT_PKmllT0_T1_16OffsetCalculatorILi1EjLb0EE.num_agpr, 0
	.set _ZN2at6native12_GLOBAL__N_123philox_multi_key_kernelIfZZZZNS0_20_philox_normal_cuda_ERNS_6TensorERKS3_ddENKUlvE_clEvENKUlvE0_clEvENKUlvE_clEvEUlmmE0_ZZZNS0_20_philox_normal_cuda_ES4_S6_ddENKS7_clEvENKS8_clEvEUlfE_EEvPT_PKmllT0_T1_16OffsetCalculatorILi1EjLb0EE.numbered_sgpr, 44
	.set _ZN2at6native12_GLOBAL__N_123philox_multi_key_kernelIfZZZZNS0_20_philox_normal_cuda_ERNS_6TensorERKS3_ddENKUlvE_clEvENKUlvE0_clEvENKUlvE_clEvEUlmmE0_ZZZNS0_20_philox_normal_cuda_ES4_S6_ddENKS7_clEvENKS8_clEvEUlfE_EEvPT_PKmllT0_T1_16OffsetCalculatorILi1EjLb0EE.num_named_barrier, 0
	.set _ZN2at6native12_GLOBAL__N_123philox_multi_key_kernelIfZZZZNS0_20_philox_normal_cuda_ERNS_6TensorERKS3_ddENKUlvE_clEvENKUlvE0_clEvENKUlvE_clEvEUlmmE0_ZZZNS0_20_philox_normal_cuda_ES4_S6_ddENKS7_clEvENKS8_clEvEUlfE_EEvPT_PKmllT0_T1_16OffsetCalculatorILi1EjLb0EE.private_seg_size, 0
	.set _ZN2at6native12_GLOBAL__N_123philox_multi_key_kernelIfZZZZNS0_20_philox_normal_cuda_ERNS_6TensorERKS3_ddENKUlvE_clEvENKUlvE0_clEvENKUlvE_clEvEUlmmE0_ZZZNS0_20_philox_normal_cuda_ES4_S6_ddENKS7_clEvENKS8_clEvEUlfE_EEvPT_PKmllT0_T1_16OffsetCalculatorILi1EjLb0EE.uses_vcc, 1
	.set _ZN2at6native12_GLOBAL__N_123philox_multi_key_kernelIfZZZZNS0_20_philox_normal_cuda_ERNS_6TensorERKS3_ddENKUlvE_clEvENKUlvE0_clEvENKUlvE_clEvEUlmmE0_ZZZNS0_20_philox_normal_cuda_ES4_S6_ddENKS7_clEvENKS8_clEvEUlfE_EEvPT_PKmllT0_T1_16OffsetCalculatorILi1EjLb0EE.uses_flat_scratch, 0
	.set _ZN2at6native12_GLOBAL__N_123philox_multi_key_kernelIfZZZZNS0_20_philox_normal_cuda_ERNS_6TensorERKS3_ddENKUlvE_clEvENKUlvE0_clEvENKUlvE_clEvEUlmmE0_ZZZNS0_20_philox_normal_cuda_ES4_S6_ddENKS7_clEvENKS8_clEvEUlfE_EEvPT_PKmllT0_T1_16OffsetCalculatorILi1EjLb0EE.has_dyn_sized_stack, 0
	.set _ZN2at6native12_GLOBAL__N_123philox_multi_key_kernelIfZZZZNS0_20_philox_normal_cuda_ERNS_6TensorERKS3_ddENKUlvE_clEvENKUlvE0_clEvENKUlvE_clEvEUlmmE0_ZZZNS0_20_philox_normal_cuda_ES4_S6_ddENKS7_clEvENKS8_clEvEUlfE_EEvPT_PKmllT0_T1_16OffsetCalculatorILi1EjLb0EE.has_recursion, 0
	.set _ZN2at6native12_GLOBAL__N_123philox_multi_key_kernelIfZZZZNS0_20_philox_normal_cuda_ERNS_6TensorERKS3_ddENKUlvE_clEvENKUlvE0_clEvENKUlvE_clEvEUlmmE0_ZZZNS0_20_philox_normal_cuda_ES4_S6_ddENKS7_clEvENKS8_clEvEUlfE_EEvPT_PKmllT0_T1_16OffsetCalculatorILi1EjLb0EE.has_indirect_call, 0
	.section	.AMDGPU.csdata,"",@progbits
; Kernel info:
; codeLenInByte = 3552
; TotalNumSgprs: 46
; NumVgprs: 21
; ScratchSize: 0
; MemoryBound: 0
; FloatMode: 240
; IeeeMode: 1
; LDSByteSize: 0 bytes/workgroup (compile time only)
; SGPRBlocks: 0
; VGPRBlocks: 1
; NumSGPRsForWavesPerEU: 46
; NumVGPRsForWavesPerEU: 21
; NamedBarCnt: 0
; Occupancy: 16
; WaveLimiterHint : 1
; COMPUTE_PGM_RSRC2:SCRATCH_EN: 0
; COMPUTE_PGM_RSRC2:USER_SGPR: 2
; COMPUTE_PGM_RSRC2:TRAP_HANDLER: 0
; COMPUTE_PGM_RSRC2:TGID_X_EN: 1
; COMPUTE_PGM_RSRC2:TGID_Y_EN: 0
; COMPUTE_PGM_RSRC2:TGID_Z_EN: 0
; COMPUTE_PGM_RSRC2:TIDIG_COMP_CNT: 0
	.section	.text._ZN2at6native12_GLOBAL__N_124philox_single_key_kernelIN3c104HalfEZZZZNS0_20_philox_normal_cuda_ERNS_6TensorERKS5_ddENKUlvE_clEvENKUlvE1_clEvENKUlvE_clEvEUlmmE0_ZZZNS0_20_philox_normal_cuda_ES6_S8_ddENKS9_clEvENKSA_clEvEUlfE_EEvPT_PKmlT0_T1_,"axG",@progbits,_ZN2at6native12_GLOBAL__N_124philox_single_key_kernelIN3c104HalfEZZZZNS0_20_philox_normal_cuda_ERNS_6TensorERKS5_ddENKUlvE_clEvENKUlvE1_clEvENKUlvE_clEvEUlmmE0_ZZZNS0_20_philox_normal_cuda_ES6_S8_ddENKS9_clEvENKSA_clEvEUlfE_EEvPT_PKmlT0_T1_,comdat
	.globl	_ZN2at6native12_GLOBAL__N_124philox_single_key_kernelIN3c104HalfEZZZZNS0_20_philox_normal_cuda_ERNS_6TensorERKS5_ddENKUlvE_clEvENKUlvE1_clEvENKUlvE_clEvEUlmmE0_ZZZNS0_20_philox_normal_cuda_ES6_S8_ddENKS9_clEvENKSA_clEvEUlfE_EEvPT_PKmlT0_T1_ ; -- Begin function _ZN2at6native12_GLOBAL__N_124philox_single_key_kernelIN3c104HalfEZZZZNS0_20_philox_normal_cuda_ERNS_6TensorERKS5_ddENKUlvE_clEvENKUlvE1_clEvENKUlvE_clEvEUlmmE0_ZZZNS0_20_philox_normal_cuda_ES6_S8_ddENKS9_clEvENKSA_clEvEUlfE_EEvPT_PKmlT0_T1_
	.p2align	8
	.type	_ZN2at6native12_GLOBAL__N_124philox_single_key_kernelIN3c104HalfEZZZZNS0_20_philox_normal_cuda_ERNS_6TensorERKS5_ddENKUlvE_clEvENKUlvE1_clEvENKUlvE_clEvEUlmmE0_ZZZNS0_20_philox_normal_cuda_ES6_S8_ddENKS9_clEvENKSA_clEvEUlfE_EEvPT_PKmlT0_T1_,@function
_ZN2at6native12_GLOBAL__N_124philox_single_key_kernelIN3c104HalfEZZZZNS0_20_philox_normal_cuda_ERNS_6TensorERKS5_ddENKUlvE_clEvENKUlvE1_clEvENKUlvE_clEvEUlmmE0_ZZZNS0_20_philox_normal_cuda_ES6_S8_ddENKS9_clEvENKSA_clEvEUlfE_EEvPT_PKmlT0_T1_: ; @_ZN2at6native12_GLOBAL__N_124philox_single_key_kernelIN3c104HalfEZZZZNS0_20_philox_normal_cuda_ERNS_6TensorERKS5_ddENKUlvE_clEvENKUlvE1_clEvENKUlvE_clEvEUlmmE0_ZZZNS0_20_philox_normal_cuda_ES6_S8_ddENKS9_clEvENKSA_clEvEUlfE_EEvPT_PKmlT0_T1_
; %bb.0:
	s_clause 0x3
	s_load_b64 s[16:17], s[2:3], 0x10
	s_load_b32 s8, s[2:3], 0x34
	s_load_b128 s[4:7], s[2:3], 0x0
	s_load_b64 s[12:13], s[2:3], 0x1c
	s_wait_xcnt 0x0
	s_bfe_u32 s2, ttmp6, 0x4000c
	s_mov_b32 s3, 0
	s_add_co_i32 s2, s2, 1
	s_and_b32 s9, ttmp6, 15
	s_mul_i32 s18, ttmp9, s2
	s_getreg_b32 s10, hwreg(HW_REG_IB_STS2, 6, 4)
	v_mov_b32_e32 v3, 0
	v_and_b32_e32 v2, 0x3ff, v0
	s_wait_kmcnt 0x0
	s_ashr_i32 s11, s17, 31
	s_and_b32 s19, s8, 0xffff
	s_lshr_b32 s2, s11, 30
	s_delay_alu instid0(SALU_CYCLE_1) | instskip(NEXT) | instid1(SALU_CYCLE_1)
	s_add_nc_u64 s[2:3], s[16:17], s[2:3]
	s_ashr_i64 s[14:15], s[2:3], 2
	s_add_co_i32 s2, s9, s18
	s_cmp_eq_u32 s10, 0
	s_load_b128 s[8:11], s[6:7], 0x0
	s_cselect_b32 s2, ttmp9, s2
	s_wait_xcnt 0x0
	s_mov_b32 s6, exec_lo
	v_mad_nc_u64_u32 v[4:5], s19, s2, v[2:3]
	s_delay_alu instid0(VALU_DEP_1)
	v_cmpx_gt_i64_e64 s[14:15], v[4:5]
	s_cbranch_execz .LBB12_2
; %bb.1:
	s_wait_kmcnt 0x0
	v_add_nc_u64_e32 v[6:7], s[10:11], v[4:5]
	v_mov_b32_e32 v9, v3
	s_mov_b64 s[2:3], 0xd2511f53
	v_mov_b32_e32 v11, v3
	s_mov_b32 s7, 0x2f800000
	s_delay_alu instid0(VALU_DEP_3) | instskip(SKIP_1) | instid1(VALU_DEP_2)
	v_dual_mov_b32 v8, v6 :: v_dual_bitop2_b32 v10, s8, v7 bitop3:0x14
	v_mul_lo_u32 v1, 0xd2511f53, v6
	v_mul_u64_e32 v[8:9], s[2:3], v[8:9]
	s_delay_alu instid0(VALU_DEP_3) | instskip(SKIP_2) | instid1(VALU_DEP_3)
	v_mul_u64_e32 v[12:13], s[2:3], v[10:11]
	v_mov_b32_e32 v15, v3
	s_mov_b64 s[2:3], 0xcd9e8d57
	v_xor_b32_e32 v14, s9, v9
	s_delay_alu instid0(VALU_DEP_1)
	v_mul_u64_e32 v[8:9], s[2:3], v[14:15]
	s_add_co_i32 s2, s9, 0xbb67ae85
	v_mul_lo_u32 v3, 0xcd9e8d57, v14
	v_xor3_b32 v1, v1, s2, v13
	s_add_co_i32 s2, s8, 0x9e3779b9
	v_mul_lo_u32 v8, 0xd2511f53, v10
	s_delay_alu instid0(VALU_DEP_2)
	v_mul_hi_u32 v6, 0xcd9e8d57, v1
	v_mul_lo_u32 v1, 0xcd9e8d57, v1
	v_xor_b32_e32 v7, s2, v9
	s_add_co_i32 s2, s8, 0x3c6ef372
	s_delay_alu instid0(VALU_DEP_3) | instid1(SALU_CYCLE_1)
	v_xor3_b32 v3, v3, s2, v6
	s_add_co_i32 s2, s9, 0x76cf5d0a
	s_delay_alu instid0(VALU_DEP_2) | instskip(SKIP_1) | instid1(VALU_DEP_3)
	v_mul_hi_u32 v9, 0xd2511f53, v7
	v_mul_lo_u32 v7, 0xd2511f53, v7
	v_mul_hi_u32 v6, 0xd2511f53, v3
	v_mul_lo_u32 v3, 0xd2511f53, v3
	s_delay_alu instid0(VALU_DEP_4)
	v_xor3_b32 v8, v8, s2, v9
	s_add_co_i32 s2, s9, 0x32370b8f
	s_delay_alu instid0(VALU_DEP_3) | instid1(SALU_CYCLE_1)
	v_xor3_b32 v6, v7, s2, v6
	s_add_co_i32 s2, s8, 0xdaa66d2b
	s_delay_alu instid0(VALU_DEP_2) | instskip(SKIP_1) | instid1(VALU_DEP_3)
	v_mul_hi_u32 v9, 0xcd9e8d57, v8
	v_mul_lo_u32 v7, 0xcd9e8d57, v8
	v_mul_hi_u32 v8, 0xcd9e8d57, v6
	v_mul_lo_u32 v6, 0xcd9e8d57, v6
	s_delay_alu instid0(VALU_DEP_4)
	v_xor3_b32 v1, v1, s2, v9
	;; [unrolled: 11-line block ×6, first 2 shown]
	s_add_co_i32 s2, s8, 0xf1bbcdc8
	s_delay_alu instid0(VALU_DEP_3) | instid1(SALU_CYCLE_1)
	v_xor3_b32 v7, v7, s2, v8
	s_add_co_i32 s2, s9, 0xdb3d7428
	s_delay_alu instid0(VALU_DEP_2) | instskip(SKIP_1) | instid1(VALU_DEP_3)
	v_mul_hi_u32 v9, 0xd2511f53, v1
	v_mul_lo_u32 v1, 0xd2511f53, v1
	v_mul_hi_u32 v8, 0xd2511f53, v7
	s_delay_alu instid0(VALU_DEP_3)
	v_xor3_b32 v3, v3, s2, v9
	s_add_co_i32 s2, s9, 0x96a522ad
	s_delay_alu instid0(VALU_DEP_2) | instid1(SALU_CYCLE_1)
	v_xor3_b32 v1, v1, s2, v8
	s_add_co_i32 s2, s8, 0x8ff34781
	s_delay_alu instid0(VALU_DEP_2) | instskip(SKIP_1) | instid1(VALU_DEP_3)
	v_mul_hi_u32 v9, 0xcd9e8d57, v3
	v_mul_lo_u32 v3, 0xcd9e8d57, v3
	v_cvt_f32_u32_e32 v1, v1
	s_delay_alu instid0(VALU_DEP_3) | instskip(NEXT) | instid1(VALU_DEP_3)
	v_xor3_b32 v6, v6, s2, v9
	v_cvt_f32_u32_e32 v3, v3
	s_delay_alu instid0(VALU_DEP_2) | instskip(NEXT) | instid1(VALU_DEP_1)
	v_cvt_f32_u32_e32 v6, v6
	v_dual_fmaak_f32 v1, s7, v1, 0x2f000000 :: v_dual_fmaak_f32 v6, s7, v6, 0x2f000000
	s_delay_alu instid0(VALU_DEP_1) | instskip(NEXT) | instid1(VALU_DEP_2)
	v_cmp_gt_f32_e32 vcc_lo, 0x800000, v1
	v_cmp_gt_f32_e64 s2, 0x800000, v6
	v_cndmask_b32_e64 v8, 0, 32, vcc_lo
	v_cndmask_b32_e64 v10, 0, 0x41b17218, vcc_lo
	s_delay_alu instid0(VALU_DEP_2) | instskip(NEXT) | instid1(VALU_DEP_4)
	v_ldexp_f32 v1, v1, v8
	v_cndmask_b32_e64 v8, 0, 32, s2
	s_delay_alu instid0(VALU_DEP_2) | instskip(NEXT) | instid1(VALU_DEP_1)
	v_log_f32_e32 v1, v1
	v_ldexp_f32 v6, v6, v8
	s_delay_alu instid0(VALU_DEP_1) | instskip(NEXT) | instid1(TRANS32_DEP_2)
	v_log_f32_e32 v6, v6
	v_mul_f32_e32 v8, 0x3f317217, v1
	v_cmp_gt_f32_e64 vcc_lo, 0x7f800000, |v1|
	s_delay_alu instid0(TRANS32_DEP_1) | instskip(NEXT) | instid1(VALU_DEP_3)
	v_mul_f32_e32 v9, 0x3f317217, v6
	v_fma_f32 v8, 0x3f317217, v1, -v8
	s_delay_alu instid0(VALU_DEP_2) | instskip(NEXT) | instid1(VALU_DEP_1)
	v_fma_f32 v9, 0x3f317217, v6, -v9
	v_dual_fmac_f32 v8, 0x3377d1cf, v1 :: v_dual_fmac_f32 v9, 0x3377d1cf, v6
	s_delay_alu instid0(VALU_DEP_1) | instskip(NEXT) | instid1(VALU_DEP_1)
	v_dual_fmac_f32 v8, 0x3f317217, v1 :: v_dual_fmac_f32 v9, 0x3f317217, v6
	v_cndmask_b32_e32 v1, v1, v8, vcc_lo
	v_cmp_gt_f32_e64 vcc_lo, 0x7f800000, |v6|
	v_cndmask_b32_e64 v8, 0, 0x41b17218, s2
	s_delay_alu instid0(VALU_DEP_3) | instskip(NEXT) | instid1(VALU_DEP_1)
	v_dual_sub_f32 v1, v1, v10 :: v_dual_cndmask_b32 v6, v6, v9
	v_dual_mul_f32 v1, -2.0, v1 :: v_dual_sub_f32 v6, v6, v8
	s_delay_alu instid0(VALU_DEP_1) | instskip(SKIP_1) | instid1(VALU_DEP_1)
	v_cmp_gt_f32_e32 vcc_lo, 0xf800000, v1
	v_mul_f32_e32 v8, 0x4f800000, v1
	v_dual_mul_f32 v6, -2.0, v6 :: v_dual_cndmask_b32 v1, v1, v8
	s_delay_alu instid0(VALU_DEP_1) | instskip(NEXT) | instid1(VALU_DEP_2)
	v_cmp_gt_f32_e64 s2, 0xf800000, v6
	v_sqrt_f32_e32 v9, v1
	v_mul_f32_e32 v8, 0x4f800000, v6
	s_delay_alu instid0(TRANS32_DEP_1) | instid1(VALU_DEP_1)
	v_dual_cndmask_b32 v12, v6, v8, s2 :: v_dual_add_nc_u32 v10, 1, v9
	v_mul_lo_u32 v6, 0xd2511f53, v7
	v_add_nc_u32_e32 v7, -1, v9
	s_delay_alu instid0(VALU_DEP_3) | instskip(SKIP_1) | instid1(TRANS32_DEP_1)
	v_sqrt_f32_e32 v8, v12
	v_nop
	v_dual_fma_f32 v11, -v7, v9, v1 :: v_dual_add_nc_u32 v13, -1, v8
	s_delay_alu instid0(VALU_DEP_1)
	v_cmp_ge_f32_e64 s3, 0, v11
	v_fma_f32 v14, -v10, v9, v1
	v_cvt_f32_u32_e32 v6, v6
	v_fmaak_f32 v3, s7, v3, 0x2f000000
	v_fma_f32 v11, -v13, v8, v12
	v_cndmask_b32_e64 v7, v9, v7, s3
	v_cmp_lt_f32_e64 s3, 0, v14
	v_dual_fmaak_f32 v6, s7, v6, 0x2f000000 :: v_dual_add_nc_u32 v9, 1, v8
	v_mul_f32_e32 v3, 0x40c90fdb, v3
	s_delay_alu instid0(VALU_DEP_2) | instskip(SKIP_1) | instid1(VALU_DEP_3)
	v_dual_cndmask_b32 v7, v7, v10, s3 :: v_dual_fma_f32 v10, -v9, v8, v12
	v_cmp_ge_f32_e64 s3, 0, v11
	v_dual_mul_f32 v6, 0x40c90fdb, v6 :: v_dual_mul_f32 v3, 0.15915494, v3
	s_delay_alu instid0(VALU_DEP_3) | instskip(NEXT) | instid1(VALU_DEP_3)
	v_mul_f32_e32 v11, 0x37800000, v7
	v_cndmask_b32_e64 v8, v8, v13, s3
	v_cmp_lt_f32_e64 s3, 0, v10
	s_delay_alu instid0(VALU_DEP_3) | instskip(SKIP_1) | instid1(VALU_DEP_2)
	v_dual_mul_f32 v10, 0.15915494, v6 :: v_dual_cndmask_b32 v7, v7, v11
	v_cmp_class_f32_e64 vcc_lo, v1, 0x260
	v_sin_f32_e32 v11, v10
	v_cos_f32_e32 v10, v10
	s_delay_alu instid0(VALU_DEP_2)
	v_cndmask_b32_e32 v6, v7, v1, vcc_lo
	v_cmp_class_f32_e64 vcc_lo, v12, 0x260
	v_cndmask_b32_e64 v8, v8, v9, s3
	s_delay_alu instid0(TRANS32_DEP_1) | instid1(VALU_DEP_3)
	v_pk_mul_f32 v[6:7], v[10:11], v[6:7] op_sel_hi:[1,0]
	s_delay_alu instid0(VALU_DEP_2) | instskip(SKIP_1) | instid1(VALU_DEP_2)
	v_mul_f32_e32 v9, 0x37800000, v8
	v_lshl_add_u64 v[10:11], v[4:5], 3, s[4:5]
	v_cndmask_b32_e64 v1, v8, v9, s2
	v_sin_f32_e32 v9, v3
	v_cos_f32_e32 v8, v3
	s_mov_b32 s2, s13
	s_delay_alu instid0(VALU_DEP_1)
	v_cndmask_b32_e32 v12, v1, v12, vcc_lo
	v_pk_fma_f32 v[6:7], s[2:3], v[6:7], s[12:13] op_sel_hi:[0,1,0]
	s_delay_alu instid0(TRANS32_DEP_1) | instid1(VALU_DEP_2)
	v_pk_mul_f32 v[8:9], v[8:9], v[12:13] op_sel_hi:[1,0]
	s_delay_alu instid0(VALU_DEP_2) | instskip(NEXT) | instid1(VALU_DEP_2)
	v_cvt_pk_f16_f32 v7, v6, v7
	v_pk_fma_f32 v[8:9], s[2:3], v[8:9], s[12:13] op_sel_hi:[0,1,0]
	s_delay_alu instid0(VALU_DEP_1)
	v_cvt_pk_f16_f32 v6, v8, v9
	global_store_b64 v[10:11], v[6:7], off
.LBB12_2:
	s_wait_xcnt 0x0
	s_or_b32 exec_lo, exec_lo, s6
	s_delay_alu instid0(SALU_CYCLE_1)
	s_mov_b32 s2, exec_lo
	v_cmpx_eq_u64_e64 s[14:15], v[4:5]
	s_cbranch_execz .LBB12_11
; %bb.3:
	s_wait_kmcnt 0x0
	s_add_nc_u64 s[2:3], s[10:11], s[14:15]
	s_mov_b64 s[6:7], 0xffffffff
	s_mov_b64 s[10:11], 0xd2511f53
	s_and_b64 s[6:7], s[2:3], s[6:7]
	s_mov_b32 s19, 0
	s_mul_u64 s[6:7], s[6:7], s[10:11]
	s_mul_i32 s20, s2, 0xd2511f53
	s_xor_b32 s2, s3, s8
	s_xor_b64 s[6:7], s[6:7], s[8:9]
	s_mov_b32 s3, s19
	s_mov_b32 s18, s7
	s_mul_i32 s23, s2, 0xd2511f53
	s_mul_u64 s[2:3], s[2:3], s[10:11]
	s_mov_b64 s[10:11], 0xcd9e8d57
	s_add_co_i32 s22, s9, 0xbb67ae85
	s_mul_i32 s2, s7, 0xcd9e8d57
	s_mul_u64 s[6:7], s[18:19], s[10:11]
	s_add_co_i32 s21, s8, 0x9e3779b9
	s_xor_b32 s6, s20, s22
	s_xor_b32 s7, s21, s7
	s_xor_b32 s3, s6, s3
	s_add_co_i32 s6, s8, 0x3c6ef372
	s_add_co_i32 s10, s9, 0x76cf5d0a
	s_mul_i32 s11, s7, 0xd2511f53
	s_mul_hi_u32 s7, s7, 0xd2511f53
	s_mul_i32 s18, s3, 0xcd9e8d57
	s_mul_hi_u32 s3, s3, 0xcd9e8d57
	s_xor_b32 s2, s2, s6
	s_xor_b32 s6, s23, s10
	s_xor_b32 s2, s2, s3
	s_xor_b32 s3, s6, s7
	s_add_co_i32 s6, s8, 0xdaa66d2b
	s_add_co_i32 s7, s9, 0x32370b8f
	s_mul_i32 s10, s2, 0xd2511f53
	s_mul_hi_u32 s2, s2, 0xd2511f53
	s_mul_i32 s19, s3, 0xcd9e8d57
	s_mul_hi_u32 s3, s3, 0xcd9e8d57
	s_xor_b32 s6, s18, s6
	;; [unrolled: 10-line block ×5, first 2 shown]
	s_xor_b32 s7, s10, s7
	s_xor_b32 s2, s6, s2
	;; [unrolled: 1-line block ×3, first 2 shown]
	s_add_co_i32 s6, s8, 0x5384540f
	s_add_co_i32 s7, s9, 0x1fd5c5a3
	s_mul_hi_u32 s10, s2, 0xd2511f53
	s_mul_i32 s19, s3, 0xcd9e8d57
	s_mul_hi_u32 s3, s3, 0xcd9e8d57
	s_xor_b32 s6, s18, s6
	s_xor_b32 s7, s11, s7
	;; [unrolled: 1-line block ×4, first 2 shown]
	s_add_co_i32 s7, s8, 0xf1bbcdc8
	s_mul_hi_u32 s10, s6, 0xcd9e8d57
	s_xor_b32 s7, s19, s7
	s_mul_i32 s11, s3, 0xd2511f53
	s_xor_b32 s7, s7, s10
	s_add_co_i32 s10, s9, 0x96a522ad
	s_mul_hi_u32 s18, s7, 0xd2511f53
	s_xor_b32 s10, s11, s10
	s_mov_b32 s11, 0x2f800000
	s_xor_b32 s10, s10, s18
	s_mul_i32 s2, s2, 0xd2511f53
	s_cvt_f32_u32 s10, s10
	s_mul_hi_u32 s3, s3, 0xd2511f53
	s_mul_i32 s6, s6, 0xcd9e8d57
	s_mul_i32 s7, s7, 0xd2511f53
	s_fmaak_f32 s10, s10, s11, 0x2f000000
	v_bfe_u32 v1, v0, 10, 10
	v_bfe_u32 v4, v0, 20, 10
	s_delay_alu instid0(SALU_CYCLE_1) | instskip(SKIP_3) | instid1(SALU_CYCLE_3)
	s_cmp_lt_f32 s10, 0x800000
	s_cselect_b32 s18, 0x4f800000, 1.0
	s_cselect_b32 s19, 0x41b17218, 0
	s_mul_f32 s10, s10, s18
	v_s_log_f32 s10, s10
	s_delay_alu instid0(TRANS32_DEP_1) | instskip(SKIP_1) | instid1(SALU_CYCLE_2)
	s_mul_f32 s18, s10, 0x3f317217
	s_and_b32 s20, s10, 0x7fffffff
	s_xor_b32 s18, s18, 0x80000000
	s_cmp_lt_f32 s20, 0x7f800000
	s_fmamk_f32 s18, s10, 0x3f317217, s18
	s_delay_alu instid0(SALU_CYCLE_3) | instskip(NEXT) | instid1(SALU_CYCLE_3)
	s_fmamk_f32 s18, s10, 0x3377d1cf, s18
	s_fmamk_f32 s18, s10, 0x3f317217, s18
	s_delay_alu instid0(SALU_CYCLE_3) | instskip(NEXT) | instid1(SALU_CYCLE_1)
	s_cselect_b32 s10, s18, s10
	s_sub_f32 s10, s10, s19
	s_delay_alu instid0(SALU_CYCLE_3) | instskip(NEXT) | instid1(SALU_CYCLE_3)
	s_mul_f32 s10, s10, -2.0
	s_mul_f32 s18, s10, 0x4f800000
	s_cmp_lt_f32 s10, 0xf800000
	s_delay_alu instid0(SALU_CYCLE_2) | instskip(NEXT) | instid1(SALU_CYCLE_1)
	s_cselect_b32 s18, s18, s10
	v_s_sqrt_f32 s19, s18
	s_mov_b32 s22, s18
	s_delay_alu instid0(TRANS32_DEP_1) | instskip(NEXT) | instid1(SALU_CYCLE_1)
	s_add_co_i32 s20, s19, -1
	s_xor_b32 s21, s20, 0x80000000
	s_delay_alu instid0(SALU_CYCLE_1) | instskip(NEXT) | instid1(SALU_CYCLE_3)
	s_fmac_f32 s22, s21, s19
	s_cmp_le_f32 s22, 0
	s_mov_b32 s22, s18
	s_cselect_b32 s20, s20, s19
	s_add_co_i32 s21, s19, 1
	s_delay_alu instid0(SALU_CYCLE_1) | instskip(NEXT) | instid1(SALU_CYCLE_1)
	s_xor_b32 s23, s21, 0x80000000
	s_fmac_f32 s22, s23, s19
	s_delay_alu instid0(SALU_CYCLE_3) | instskip(SKIP_3) | instid1(SALU_CYCLE_3)
	s_cmp_gt_f32 s22, 0
	s_cselect_b32 s19, s21, s20
	s_cmp_lt_f32 s10, 0xf800000
	s_mul_f32 s10, s19, 0x37800000
	s_cselect_b32 s10, s10, s19
	s_add_co_i32 s9, s9, 0xdb3d7428
	s_add_co_i32 s8, s8, 0x8ff34781
	s_xor_b32 s2, s2, s9
	s_delay_alu instid0(SALU_CYCLE_1)
	s_xor_b32 s9, s2, s3
	s_xor_b32 s2, s6, s8
	s_mul_hi_u32 s3, s9, 0xcd9e8d57
	s_mul_i32 s9, s9, 0xcd9e8d57
	s_xor_b32 s2, s2, s3
	s_cvt_f32_u32 s9, s9
	s_cvt_f32_u32 s2, s2
	s_delay_alu instid0(SALU_CYCLE_2) | instskip(NEXT) | instid1(SALU_CYCLE_2)
	s_fmaak_f32 s9, s9, s11, 0x2f000000
	s_fmaak_f32 s2, s2, s11, 0x2f000000
	s_delay_alu instid0(SALU_CYCLE_3) | instskip(SKIP_3) | instid1(SALU_CYCLE_3)
	s_cmp_lt_f32 s2, 0x800000
	s_cselect_b32 s3, 0x4f800000, 1.0
	s_cselect_b32 s6, 0x41b17218, 0
	s_mul_f32 s2, s2, s3
	v_s_log_f32 s2, s2
	s_delay_alu instid0(TRANS32_DEP_1) | instskip(SKIP_1) | instid1(SALU_CYCLE_2)
	s_mul_f32 s3, s2, 0x3f317217
	s_and_b32 s8, s2, 0x7fffffff
	s_xor_b32 s3, s3, 0x80000000
	s_cmp_lt_f32 s8, 0x7f800000
	s_fmamk_f32 s3, s2, 0x3f317217, s3
	s_delay_alu instid0(SALU_CYCLE_3) | instskip(NEXT) | instid1(SALU_CYCLE_3)
	s_fmamk_f32 s3, s2, 0x3377d1cf, s3
	s_fmamk_f32 s3, s2, 0x3f317217, s3
	s_delay_alu instid0(SALU_CYCLE_3) | instskip(NEXT) | instid1(SALU_CYCLE_1)
	s_cselect_b32 s2, s3, s2
	s_sub_f32 s2, s2, s6
	s_delay_alu instid0(SALU_CYCLE_3) | instskip(NEXT) | instid1(SALU_CYCLE_3)
	s_mul_f32 s6, s2, -2.0
	s_mul_f32 s2, s6, 0x4f800000
	s_cmp_lt_f32 s6, 0xf800000
	s_delay_alu instid0(SALU_CYCLE_2) | instskip(NEXT) | instid1(SALU_CYCLE_1)
	s_cselect_b32 s8, s2, s6
	v_s_sqrt_f32 s19, s8
	s_mov_b32 s21, s8
	s_delay_alu instid0(TRANS32_DEP_1) | instskip(NEXT) | instid1(SALU_CYCLE_1)
	s_add_co_i32 s20, s19, -1
	s_xor_b32 s2, s20, 0x80000000
	s_delay_alu instid0(SALU_CYCLE_1) | instskip(SKIP_4) | instid1(SALU_CYCLE_2)
	s_fmac_f32 s21, s2, s19
	s_load_b64 s[2:3], s[0:1], 0x4
	s_wait_xcnt 0x0
	s_cvt_f32_u32 s0, s7
	s_cmp_le_f32 s21, 0
	s_fmaak_f32 s0, s0, s11, 0x2f000000
	s_cselect_b32 s1, s20, s19
	s_add_co_i32 s7, s19, 1
	s_mov_b32 s20, s8
	s_xor_b32 s21, s7, 0x80000000
	s_mul_f32 s0, s0, 0x40c90fdb
	s_fmac_f32 s20, s21, s19
	s_delay_alu instid0(SALU_CYCLE_2) | instskip(NEXT) | instid1(SALU_CYCLE_2)
	s_mul_f32 s0, s0, 0.15915494
	s_cmp_gt_f32 s20, 0
	s_delay_alu instid0(SALU_CYCLE_2)
	v_sin_f32_e32 v3, s0
	s_cselect_b32 s1, s7, s1
	s_cmp_lt_f32 s6, 0xf800000
	s_mul_f32 s6, s1, 0x37800000
	s_mul_f32 s7, s9, 0x40c90fdb
	v_cmp_class_f32_e64 s9, s18, 0x260
	s_wait_kmcnt 0x0
	v_mul_u32_u24_e32 v5, s3, v1
	s_cselect_b32 s1, s6, s1
	s_lshr_b32 s2, s2, 16
	s_delay_alu instid0(SALU_CYCLE_1)
	s_mul_i32 s2, s2, s3
	s_mul_f32 s3, s7, 0.15915494
	v_mul_lo_u32 v6, s2, v2
	v_cos_f32_e32 v2, s0
	v_cmp_class_f32_e64 s0, s8, 0x260
	s_lshl_b64 s[6:7], s[14:15], 2
	v_sin_f32_e32 v1, s3
	v_cos_f32_e32 v0, s3
	s_and_b32 s0, s0, exec_lo
	s_cselect_b32 s2, s8, s1
	s_and_b32 s0, s9, exec_lo
	s_sub_nc_u64 s[0:1], s[16:17], s[6:7]
	v_add3_u32 v4, v6, v5, v4
	v_cmp_lt_i64_e64 s3, s[0:1], 1
	s_cselect_b32 s8, s18, s10
	s_delay_alu instid0(SALU_CYCLE_1)
	v_pk_mul_f32 v[2:3], v[2:3], s[8:9] op_sel_hi:[1,0]
	v_lshlrev_b32_e32 v5, 4, v4
	s_mov_b32 s8, -1
	v_pk_mul_f32 v[0:1], v[0:1], s[2:3] op_sel_hi:[1,0]
	s_and_b32 vcc_lo, exec_lo, s3
	ds_store_b128 v5, v[0:3]
	s_cbranch_vccnz .LBB12_11
; %bb.4:
	s_cmp_eq_u64 s[0:1], 1
	s_mov_b64 s[2:3], 0
	s_cbranch_scc1 .LBB12_8
; %bb.5:
	s_mov_b32 s2, s13
	s_mov_b32 s3, s13
	;; [unrolled: 1-line block ×4, first 2 shown]
	v_mov_b64_e32 v[0:1], s[2:3]
	v_mov_b64_e32 v[2:3], s[10:11]
	s_lshl_b64 s[8:9], s[6:7], 1
	s_and_b64 s[6:7], s[16:17], 1
	v_mov_b32_e32 v6, 0
	s_sub_nc_u64 s[2:3], s[0:1], s[6:7]
	s_add_nc_u64 s[8:9], s[4:5], s[8:9]
	s_mov_b64 s[10:11], s[2:3]
.LBB12_6:                               ; =>This Inner Loop Header: Depth=1
	ds_load_b64 v[8:9], v5
	v_add_nc_u32_e32 v5, 8, v5
	s_add_nc_u64 s[10:11], s[10:11], -2
	s_delay_alu instid0(SALU_CYCLE_1) | instskip(SKIP_2) | instid1(VALU_DEP_1)
	s_cmp_lg_u64 s[10:11], 0
	s_wait_dscnt 0x0
	v_pk_fma_f32 v[8:9], v[0:1], v[8:9], v[2:3]
	v_cvt_pk_f16_f32 v7, v8, v9
	global_store_b32 v6, v7, s[8:9]
	s_wait_xcnt 0x0
	s_add_nc_u64 s[8:9], s[8:9], 4
	s_cbranch_scc1 .LBB12_6
; %bb.7:
	s_cmp_lg_u64 s[6:7], 0
	s_cselect_b32 s8, -1, 0
.LBB12_8:
	s_delay_alu instid0(SALU_CYCLE_1)
	s_and_b32 vcc_lo, exec_lo, s8
	s_cbranch_vccz .LBB12_11
; %bb.9:
	v_dual_mov_b32 v1, 0 :: v_dual_lshlrev_b32 v0, 4, v4
	s_lshl_b64 s[6:7], s[14:15], 3
	s_lshl_b64 s[8:9], s[2:3], 1
	s_delay_alu instid0(SALU_CYCLE_1) | instskip(NEXT) | instid1(VALU_DEP_1)
	s_add_nc_u64 s[6:7], s[6:7], s[8:9]
	v_lshl_add_u32 v0, s2, 2, v0
	s_add_nc_u64 s[4:5], s[4:5], s[6:7]
.LBB12_10:                              ; =>This Inner Loop Header: Depth=1
	ds_load_b32 v2, v0
	s_add_nc_u64 s[2:3], s[2:3], 1
	v_add_nc_u32_e32 v0, 4, v0
	v_cmp_gt_i64_e64 s6, s[0:1], s[2:3]
	s_and_b32 vcc_lo, exec_lo, s6
	s_wait_dscnt 0x0
	v_fma_mixlo_f16 v2, s13, v2, s12
	global_store_b16 v1, v2, s[4:5]
	s_wait_xcnt 0x0
	s_add_nc_u64 s[4:5], s[4:5], 2
	s_cbranch_vccnz .LBB12_10
.LBB12_11:
	s_endpgm
	.section	.rodata,"a",@progbits
	.p2align	6, 0x0
	.amdhsa_kernel _ZN2at6native12_GLOBAL__N_124philox_single_key_kernelIN3c104HalfEZZZZNS0_20_philox_normal_cuda_ERNS_6TensorERKS5_ddENKUlvE_clEvENKUlvE1_clEvENKUlvE_clEvEUlmmE0_ZZZNS0_20_philox_normal_cuda_ES6_S8_ddENKS9_clEvENKSA_clEvEUlfE_EEvPT_PKmlT0_T1_
		.amdhsa_group_segment_fixed_size 16384
		.amdhsa_private_segment_fixed_size 0
		.amdhsa_kernarg_size 296
		.amdhsa_user_sgpr_count 4
		.amdhsa_user_sgpr_dispatch_ptr 1
		.amdhsa_user_sgpr_queue_ptr 0
		.amdhsa_user_sgpr_kernarg_segment_ptr 1
		.amdhsa_user_sgpr_dispatch_id 0
		.amdhsa_user_sgpr_kernarg_preload_length 0
		.amdhsa_user_sgpr_kernarg_preload_offset 0
		.amdhsa_user_sgpr_private_segment_size 0
		.amdhsa_wavefront_size32 1
		.amdhsa_uses_dynamic_stack 0
		.amdhsa_enable_private_segment 0
		.amdhsa_system_sgpr_workgroup_id_x 1
		.amdhsa_system_sgpr_workgroup_id_y 0
		.amdhsa_system_sgpr_workgroup_id_z 0
		.amdhsa_system_sgpr_workgroup_info 0
		.amdhsa_system_vgpr_workitem_id 2
		.amdhsa_next_free_vgpr 16
		.amdhsa_next_free_sgpr 24
		.amdhsa_named_barrier_count 0
		.amdhsa_reserve_vcc 1
		.amdhsa_float_round_mode_32 0
		.amdhsa_float_round_mode_16_64 0
		.amdhsa_float_denorm_mode_32 3
		.amdhsa_float_denorm_mode_16_64 3
		.amdhsa_fp16_overflow 0
		.amdhsa_memory_ordered 1
		.amdhsa_forward_progress 1
		.amdhsa_inst_pref_size 27
		.amdhsa_round_robin_scheduling 0
		.amdhsa_exception_fp_ieee_invalid_op 0
		.amdhsa_exception_fp_denorm_src 0
		.amdhsa_exception_fp_ieee_div_zero 0
		.amdhsa_exception_fp_ieee_overflow 0
		.amdhsa_exception_fp_ieee_underflow 0
		.amdhsa_exception_fp_ieee_inexact 0
		.amdhsa_exception_int_div_zero 0
	.end_amdhsa_kernel
	.section	.text._ZN2at6native12_GLOBAL__N_124philox_single_key_kernelIN3c104HalfEZZZZNS0_20_philox_normal_cuda_ERNS_6TensorERKS5_ddENKUlvE_clEvENKUlvE1_clEvENKUlvE_clEvEUlmmE0_ZZZNS0_20_philox_normal_cuda_ES6_S8_ddENKS9_clEvENKSA_clEvEUlfE_EEvPT_PKmlT0_T1_,"axG",@progbits,_ZN2at6native12_GLOBAL__N_124philox_single_key_kernelIN3c104HalfEZZZZNS0_20_philox_normal_cuda_ERNS_6TensorERKS5_ddENKUlvE_clEvENKUlvE1_clEvENKUlvE_clEvEUlmmE0_ZZZNS0_20_philox_normal_cuda_ES6_S8_ddENKS9_clEvENKSA_clEvEUlfE_EEvPT_PKmlT0_T1_,comdat
.Lfunc_end12:
	.size	_ZN2at6native12_GLOBAL__N_124philox_single_key_kernelIN3c104HalfEZZZZNS0_20_philox_normal_cuda_ERNS_6TensorERKS5_ddENKUlvE_clEvENKUlvE1_clEvENKUlvE_clEvEUlmmE0_ZZZNS0_20_philox_normal_cuda_ES6_S8_ddENKS9_clEvENKSA_clEvEUlfE_EEvPT_PKmlT0_T1_, .Lfunc_end12-_ZN2at6native12_GLOBAL__N_124philox_single_key_kernelIN3c104HalfEZZZZNS0_20_philox_normal_cuda_ERNS_6TensorERKS5_ddENKUlvE_clEvENKUlvE1_clEvENKUlvE_clEvEUlmmE0_ZZZNS0_20_philox_normal_cuda_ES6_S8_ddENKS9_clEvENKSA_clEvEUlfE_EEvPT_PKmlT0_T1_
                                        ; -- End function
	.set _ZN2at6native12_GLOBAL__N_124philox_single_key_kernelIN3c104HalfEZZZZNS0_20_philox_normal_cuda_ERNS_6TensorERKS5_ddENKUlvE_clEvENKUlvE1_clEvENKUlvE_clEvEUlmmE0_ZZZNS0_20_philox_normal_cuda_ES6_S8_ddENKS9_clEvENKSA_clEvEUlfE_EEvPT_PKmlT0_T1_.num_vgpr, 16
	.set _ZN2at6native12_GLOBAL__N_124philox_single_key_kernelIN3c104HalfEZZZZNS0_20_philox_normal_cuda_ERNS_6TensorERKS5_ddENKUlvE_clEvENKUlvE1_clEvENKUlvE_clEvEUlmmE0_ZZZNS0_20_philox_normal_cuda_ES6_S8_ddENKS9_clEvENKSA_clEvEUlfE_EEvPT_PKmlT0_T1_.num_agpr, 0
	.set _ZN2at6native12_GLOBAL__N_124philox_single_key_kernelIN3c104HalfEZZZZNS0_20_philox_normal_cuda_ERNS_6TensorERKS5_ddENKUlvE_clEvENKUlvE1_clEvENKUlvE_clEvEUlmmE0_ZZZNS0_20_philox_normal_cuda_ES6_S8_ddENKS9_clEvENKSA_clEvEUlfE_EEvPT_PKmlT0_T1_.numbered_sgpr, 24
	.set _ZN2at6native12_GLOBAL__N_124philox_single_key_kernelIN3c104HalfEZZZZNS0_20_philox_normal_cuda_ERNS_6TensorERKS5_ddENKUlvE_clEvENKUlvE1_clEvENKUlvE_clEvEUlmmE0_ZZZNS0_20_philox_normal_cuda_ES6_S8_ddENKS9_clEvENKSA_clEvEUlfE_EEvPT_PKmlT0_T1_.num_named_barrier, 0
	.set _ZN2at6native12_GLOBAL__N_124philox_single_key_kernelIN3c104HalfEZZZZNS0_20_philox_normal_cuda_ERNS_6TensorERKS5_ddENKUlvE_clEvENKUlvE1_clEvENKUlvE_clEvEUlmmE0_ZZZNS0_20_philox_normal_cuda_ES6_S8_ddENKS9_clEvENKSA_clEvEUlfE_EEvPT_PKmlT0_T1_.private_seg_size, 0
	.set _ZN2at6native12_GLOBAL__N_124philox_single_key_kernelIN3c104HalfEZZZZNS0_20_philox_normal_cuda_ERNS_6TensorERKS5_ddENKUlvE_clEvENKUlvE1_clEvENKUlvE_clEvEUlmmE0_ZZZNS0_20_philox_normal_cuda_ES6_S8_ddENKS9_clEvENKSA_clEvEUlfE_EEvPT_PKmlT0_T1_.uses_vcc, 1
	.set _ZN2at6native12_GLOBAL__N_124philox_single_key_kernelIN3c104HalfEZZZZNS0_20_philox_normal_cuda_ERNS_6TensorERKS5_ddENKUlvE_clEvENKUlvE1_clEvENKUlvE_clEvEUlmmE0_ZZZNS0_20_philox_normal_cuda_ES6_S8_ddENKS9_clEvENKSA_clEvEUlfE_EEvPT_PKmlT0_T1_.uses_flat_scratch, 0
	.set _ZN2at6native12_GLOBAL__N_124philox_single_key_kernelIN3c104HalfEZZZZNS0_20_philox_normal_cuda_ERNS_6TensorERKS5_ddENKUlvE_clEvENKUlvE1_clEvENKUlvE_clEvEUlmmE0_ZZZNS0_20_philox_normal_cuda_ES6_S8_ddENKS9_clEvENKSA_clEvEUlfE_EEvPT_PKmlT0_T1_.has_dyn_sized_stack, 0
	.set _ZN2at6native12_GLOBAL__N_124philox_single_key_kernelIN3c104HalfEZZZZNS0_20_philox_normal_cuda_ERNS_6TensorERKS5_ddENKUlvE_clEvENKUlvE1_clEvENKUlvE_clEvEUlmmE0_ZZZNS0_20_philox_normal_cuda_ES6_S8_ddENKS9_clEvENKSA_clEvEUlfE_EEvPT_PKmlT0_T1_.has_recursion, 0
	.set _ZN2at6native12_GLOBAL__N_124philox_single_key_kernelIN3c104HalfEZZZZNS0_20_philox_normal_cuda_ERNS_6TensorERKS5_ddENKUlvE_clEvENKUlvE1_clEvENKUlvE_clEvEUlmmE0_ZZZNS0_20_philox_normal_cuda_ES6_S8_ddENKS9_clEvENKSA_clEvEUlfE_EEvPT_PKmlT0_T1_.has_indirect_call, 0
	.section	.AMDGPU.csdata,"",@progbits
; Kernel info:
; codeLenInByte = 3404
; TotalNumSgprs: 26
; NumVgprs: 16
; ScratchSize: 0
; MemoryBound: 0
; FloatMode: 240
; IeeeMode: 1
; LDSByteSize: 16384 bytes/workgroup (compile time only)
; SGPRBlocks: 0
; VGPRBlocks: 0
; NumSGPRsForWavesPerEU: 26
; NumVGPRsForWavesPerEU: 16
; NamedBarCnt: 0
; Occupancy: 16
; WaveLimiterHint : 0
; COMPUTE_PGM_RSRC2:SCRATCH_EN: 0
; COMPUTE_PGM_RSRC2:USER_SGPR: 4
; COMPUTE_PGM_RSRC2:TRAP_HANDLER: 0
; COMPUTE_PGM_RSRC2:TGID_X_EN: 1
; COMPUTE_PGM_RSRC2:TGID_Y_EN: 0
; COMPUTE_PGM_RSRC2:TGID_Z_EN: 0
; COMPUTE_PGM_RSRC2:TIDIG_COMP_CNT: 2
	.section	.text._ZN2at6native12_GLOBAL__N_123philox_multi_key_kernelIN3c104HalfEZZZZNS0_20_philox_normal_cuda_ERNS_6TensorERKS5_ddENKUlvE_clEvENKUlvE1_clEvENKUlvE_clEvEUlmmE0_ZZZNS0_20_philox_normal_cuda_ES6_S8_ddENKS9_clEvENKSA_clEvEUlfE_EEvPT_PKmllT0_T1_16OffsetCalculatorILi1EjLb0EE,"axG",@progbits,_ZN2at6native12_GLOBAL__N_123philox_multi_key_kernelIN3c104HalfEZZZZNS0_20_philox_normal_cuda_ERNS_6TensorERKS5_ddENKUlvE_clEvENKUlvE1_clEvENKUlvE_clEvEUlmmE0_ZZZNS0_20_philox_normal_cuda_ES6_S8_ddENKS9_clEvENKSA_clEvEUlfE_EEvPT_PKmllT0_T1_16OffsetCalculatorILi1EjLb0EE,comdat
	.globl	_ZN2at6native12_GLOBAL__N_123philox_multi_key_kernelIN3c104HalfEZZZZNS0_20_philox_normal_cuda_ERNS_6TensorERKS5_ddENKUlvE_clEvENKUlvE1_clEvENKUlvE_clEvEUlmmE0_ZZZNS0_20_philox_normal_cuda_ES6_S8_ddENKS9_clEvENKSA_clEvEUlfE_EEvPT_PKmllT0_T1_16OffsetCalculatorILi1EjLb0EE ; -- Begin function _ZN2at6native12_GLOBAL__N_123philox_multi_key_kernelIN3c104HalfEZZZZNS0_20_philox_normal_cuda_ERNS_6TensorERKS5_ddENKUlvE_clEvENKUlvE1_clEvENKUlvE_clEvEUlmmE0_ZZZNS0_20_philox_normal_cuda_ES6_S8_ddENKS9_clEvENKSA_clEvEUlfE_EEvPT_PKmllT0_T1_16OffsetCalculatorILi1EjLb0EE
	.p2align	8
	.type	_ZN2at6native12_GLOBAL__N_123philox_multi_key_kernelIN3c104HalfEZZZZNS0_20_philox_normal_cuda_ERNS_6TensorERKS5_ddENKUlvE_clEvENKUlvE1_clEvENKUlvE_clEvEUlmmE0_ZZZNS0_20_philox_normal_cuda_ES6_S8_ddENKS9_clEvENKSA_clEvEUlfE_EEvPT_PKmllT0_T1_16OffsetCalculatorILi1EjLb0EE,@function
_ZN2at6native12_GLOBAL__N_123philox_multi_key_kernelIN3c104HalfEZZZZNS0_20_philox_normal_cuda_ERNS_6TensorERKS5_ddENKUlvE_clEvENKUlvE1_clEvENKUlvE_clEvEUlmmE0_ZZZNS0_20_philox_normal_cuda_ES6_S8_ddENKS9_clEvENKSA_clEvEUlfE_EEvPT_PKmllT0_T1_16OffsetCalculatorILi1EjLb0EE: ; @_ZN2at6native12_GLOBAL__N_123philox_multi_key_kernelIN3c104HalfEZZZZNS0_20_philox_normal_cuda_ERNS_6TensorERKS5_ddENKUlvE_clEvENKUlvE1_clEvENKUlvE_clEvEUlmmE0_ZZZNS0_20_philox_normal_cuda_ES6_S8_ddENKS9_clEvENKSA_clEvEUlfE_EEvPT_PKmllT0_T1_16OffsetCalculatorILi1EjLb0EE
; %bb.0:
	s_clause 0x1
	s_load_b128 s[4:7], s[0:1], 0x10
	s_load_b32 s10, s[0:1], 0x13c
	s_bfe_u32 s2, ttmp6, 0x4000c
	v_mov_b32_e32 v4, 0
	s_add_co_i32 s2, s2, 1
	s_mov_b32 s3, 0
	s_mul_i32 s15, ttmp9, s2
	s_and_b32 s11, ttmp6, 15
	s_getreg_b32 s14, hwreg(HW_REG_IB_STS2, 6, 4)
	v_mov_b32_e32 v1, v4
	s_add_co_i32 s11, s11, s15
	s_wait_kmcnt 0x0
	s_add_nc_u64 s[8:9], s[6:7], 3
	s_delay_alu instid0(SALU_CYCLE_1) | instskip(NEXT) | instid1(SALU_CYCLE_1)
	s_ashr_i32 s12, s9, 31
	s_lshr_b32 s2, s12, 30
	s_delay_alu instid0(SALU_CYCLE_1) | instskip(SKIP_4) | instid1(SALU_CYCLE_1)
	s_add_nc_u64 s[2:3], s[8:9], s[2:3]
	s_and_b32 s8, s10, 0xffff
	s_ashr_i64 s[12:13], s[2:3], 2
	s_cmp_eq_u32 s14, 0
	s_cselect_b32 s2, ttmp9, s11
	v_mad_nc_u64_u32 v[2:3], s8, s2, v[0:1]
	s_mul_u64 s[2:3], s[12:13], s[4:5]
	s_delay_alu instid0(VALU_DEP_1) | instid1(SALU_CYCLE_1)
	v_cmp_gt_i64_e32 vcc_lo, s[2:3], v[2:3]
	s_and_saveexec_b32 s2, vcc_lo
	s_cbranch_execz .LBB13_22
; %bb.1:
	v_or_b32_e32 v5, s13, v3
                                        ; implicit-def: $vgpr0_vgpr1
	s_mov_b32 s2, exec_lo
	s_delay_alu instid0(VALU_DEP_1)
	v_cmpx_ne_u64_e32 0, v[4:5]
	s_xor_b32 s3, exec_lo, s2
	s_cbranch_execz .LBB13_3
; %bb.2:
	s_ashr_i32 s4, s13, 31
	s_mov_b32 s19, 0
	s_mov_b32 s5, s4
	v_dual_mov_b32 v7, 0 :: v_dual_ashrrev_i32 v0, 31, v3
	s_add_nc_u64 s[8:9], s[12:13], s[4:5]
	s_delay_alu instid0(SALU_CYCLE_1) | instskip(NEXT) | instid1(VALU_DEP_1)
	s_xor_b64 s[8:9], s[8:9], s[4:5]
	v_dual_mov_b32 v1, v0 :: v_dual_mov_b32 v9, v7
	s_cvt_f32_u32 s2, s8
	s_cvt_f32_u32 s5, s9
	s_sub_nc_u64 s[14:15], 0, s[8:9]
	s_delay_alu instid0(VALU_DEP_1) | instskip(SKIP_2) | instid1(SALU_CYCLE_3)
	v_add_nc_u64_e32 v[4:5], v[2:3], v[0:1]
	v_mov_b32_e32 v15, v7
	s_fmamk_f32 s2, s5, 0x4f800000, s2
	v_s_rcp_f32 s2, s2
	s_delay_alu instid0(VALU_DEP_2) | instskip(NEXT) | instid1(VALU_DEP_3)
	v_xor_b32_e32 v6, v4, v0
	v_xor_b32_e32 v8, v5, v0
	;; [unrolled: 1-line block ×3, first 2 shown]
	s_delay_alu instid0(TRANS32_DEP_1) | instskip(NEXT) | instid1(SALU_CYCLE_3)
	s_mul_f32 s2, s2, 0x5f7ffffc
	s_mul_f32 s5, s2, 0x2f800000
	s_delay_alu instid0(SALU_CYCLE_3) | instskip(NEXT) | instid1(SALU_CYCLE_3)
	s_trunc_f32 s5, s5
	s_fmamk_f32 s2, s5, 0xcf800000, s2
	s_cvt_u32_f32 s11, s5
	s_delay_alu instid0(SALU_CYCLE_2) | instskip(NEXT) | instid1(SALU_CYCLE_3)
	s_cvt_u32_f32 s10, s2
	s_mul_u64 s[16:17], s[14:15], s[10:11]
	s_delay_alu instid0(SALU_CYCLE_1)
	s_mul_hi_u32 s21, s10, s17
	s_mul_i32 s20, s10, s17
	s_mul_hi_u32 s18, s10, s16
	s_mul_i32 s5, s11, s16
	s_add_nc_u64 s[20:21], s[18:19], s[20:21]
	s_mul_hi_u32 s2, s11, s16
	s_mul_hi_u32 s22, s11, s17
	s_add_co_u32 s5, s20, s5
	s_add_co_ci_u32 s18, s21, s2
	s_mul_i32 s16, s11, s17
	s_add_co_ci_u32 s17, s22, 0
	s_delay_alu instid0(SALU_CYCLE_1) | instskip(NEXT) | instid1(SALU_CYCLE_1)
	s_add_nc_u64 s[16:17], s[18:19], s[16:17]
	s_add_co_u32 s10, s10, s16
	s_cselect_b32 s2, -1, 0
	s_delay_alu instid0(SALU_CYCLE_1) | instskip(SKIP_1) | instid1(SALU_CYCLE_1)
	s_cmp_lg_u32 s2, 0
	s_add_co_ci_u32 s11, s11, s17
	s_mul_u64 s[14:15], s[14:15], s[10:11]
	s_delay_alu instid0(SALU_CYCLE_1)
	s_mul_hi_u32 s17, s10, s15
	s_mul_i32 s16, s10, s15
	s_mul_hi_u32 s18, s10, s14
	s_mul_i32 s5, s11, s14
	s_add_nc_u64 s[16:17], s[18:19], s[16:17]
	s_mul_hi_u32 s2, s11, s14
	s_mul_hi_u32 s20, s11, s15
	s_add_co_u32 s5, s16, s5
	s_add_co_ci_u32 s18, s17, s2
	s_mul_i32 s14, s11, s15
	s_add_co_ci_u32 s15, s20, 0
	s_delay_alu instid0(SALU_CYCLE_1) | instskip(NEXT) | instid1(SALU_CYCLE_1)
	s_add_nc_u64 s[14:15], s[18:19], s[14:15]
	s_add_co_u32 s2, s10, s14
	s_cselect_b32 s5, -1, 0
	v_mul_hi_u32 v14, v6, s2
	s_cmp_lg_u32 s5, 0
	s_add_co_ci_u32 s18, s11, s15
	s_mov_b64 s[10:11], 0xffffffff
	v_mul_u64_e32 v[10:11], s[18:19], v[6:7]
	s_and_b64 s[10:11], s[2:3], s[10:11]
	v_mul_u64_e32 v[12:13], s[18:19], v[8:9]
	v_mul_u64_e32 v[4:5], s[10:11], v[8:9]
	s_delay_alu instid0(VALU_DEP_3) | instskip(NEXT) | instid1(VALU_DEP_1)
	v_add_nc_u64_e32 v[10:11], v[14:15], v[10:11]
	v_add_co_u32 v1, vcc_lo, v10, v4
	s_delay_alu instid0(VALU_DEP_2) | instskip(SKIP_1) | instid1(VALU_DEP_1)
	v_add_co_ci_u32_e32 v14, vcc_lo, v11, v5, vcc_lo
	v_add_co_ci_u32_e32 v13, vcc_lo, 0, v13, vcc_lo
	v_add_nc_u64_e32 v[4:5], v[14:15], v[12:13]
	s_delay_alu instid0(VALU_DEP_1) | instskip(NEXT) | instid1(VALU_DEP_1)
	v_mul_u64_e32 v[10:11], s[8:9], v[4:5]
	v_sub_nc_u32_e32 v1, v8, v11
	s_delay_alu instid0(VALU_DEP_2) | instskip(NEXT) | instid1(VALU_DEP_1)
	v_sub_co_u32 v6, vcc_lo, v6, v10
	v_sub_co_ci_u32_e64 v10, null, v8, v11, vcc_lo
	s_delay_alu instid0(VALU_DEP_3) | instskip(NEXT) | instid1(VALU_DEP_3)
	v_subrev_co_ci_u32_e64 v1, null, s9, v1, vcc_lo
	v_sub_co_u32 v7, s2, v6, s8
	s_delay_alu instid0(VALU_DEP_1) | instskip(NEXT) | instid1(VALU_DEP_2)
	v_subrev_co_ci_u32_e64 v1, null, 0, v1, s2
	v_cmp_le_u32_e32 vcc_lo, s8, v7
	v_cndmask_b32_e64 v7, 0, -1, vcc_lo
	s_delay_alu instid0(VALU_DEP_3)
	v_cmp_le_u32_e32 vcc_lo, s9, v1
	v_cndmask_b32_e64 v8, 0, -1, vcc_lo
	v_cmp_le_u32_e32 vcc_lo, s8, v6
	v_cndmask_b32_e64 v11, 0, -1, vcc_lo
	;; [unrolled: 2-line block ×3, first 2 shown]
	v_cmp_eq_u32_e32 vcc_lo, s9, v1
	v_cndmask_b32_e32 v1, v8, v7, vcc_lo
	v_cmp_eq_u32_e32 vcc_lo, s9, v10
	v_add_nc_u64_e32 v[6:7], 2, v[4:5]
	v_add_nc_u64_e32 v[8:9], 1, v[4:5]
	v_cndmask_b32_e32 v10, v12, v11, vcc_lo
	v_cmp_ne_u32_e32 vcc_lo, 0, v1
	s_delay_alu instid0(VALU_DEP_2) | instskip(NEXT) | instid1(VALU_DEP_4)
	v_cmp_ne_u32_e64 s2, 0, v10
	v_dual_cndmask_b32 v6, v8, v6 :: v_dual_cndmask_b32 v1, v9, v7
	s_delay_alu instid0(VALU_DEP_1) | instskip(SKIP_1) | instid1(VALU_DEP_2)
	v_dual_cndmask_b32 v4, v4, v6, s2 :: v_dual_cndmask_b32 v5, v5, v1, s2
	v_mov_b32_e32 v1, v0
	v_xor_b32_e32 v4, v4, v0
	s_delay_alu instid0(VALU_DEP_3) | instskip(NEXT) | instid1(VALU_DEP_1)
	v_xor_b32_e32 v5, v5, v0
	v_sub_nc_u64_e32 v[0:1], v[4:5], v[0:1]
.LBB13_3:
	s_and_not1_saveexec_b32 s2, s3
	s_cbranch_execz .LBB13_5
; %bb.4:
	v_cvt_f32_u32_e32 v0, s12
	s_sub_co_i32 s3, 0, s12
	s_delay_alu instid0(VALU_DEP_1) | instskip(SKIP_1) | instid1(TRANS32_DEP_1)
	v_rcp_iflag_f32_e32 v0, v0
	v_nop
	v_mul_f32_e32 v0, 0x4f7ffffe, v0
	s_delay_alu instid0(VALU_DEP_1) | instskip(NEXT) | instid1(VALU_DEP_1)
	v_cvt_u32_f32_e32 v0, v0
	v_mul_lo_u32 v1, s3, v0
	s_delay_alu instid0(VALU_DEP_1) | instskip(NEXT) | instid1(VALU_DEP_1)
	v_mul_hi_u32 v1, v0, v1
	v_add_nc_u32_e32 v0, v0, v1
	s_delay_alu instid0(VALU_DEP_1) | instskip(NEXT) | instid1(VALU_DEP_1)
	v_mul_hi_u32 v0, v2, v0
	v_mul_lo_u32 v1, v0, s12
	s_delay_alu instid0(VALU_DEP_1) | instskip(NEXT) | instid1(VALU_DEP_1)
	v_sub_nc_u32_e32 v1, v2, v1
	v_subrev_nc_u32_e32 v5, s12, v1
	v_cmp_le_u32_e32 vcc_lo, s12, v1
	s_delay_alu instid0(VALU_DEP_2) | instskip(NEXT) | instid1(VALU_DEP_1)
	v_dual_cndmask_b32 v1, v1, v5 :: v_dual_add_nc_u32 v4, 1, v0
	v_cndmask_b32_e32 v0, v0, v4, vcc_lo
	s_delay_alu instid0(VALU_DEP_2) | instskip(NEXT) | instid1(VALU_DEP_2)
	v_cmp_le_u32_e32 vcc_lo, s12, v1
	v_dual_mov_b32 v1, 0 :: v_dual_add_nc_u32 v4, 1, v0
	s_delay_alu instid0(VALU_DEP_1)
	v_cndmask_b32_e32 v0, v0, v4, vcc_lo
.LBB13_5:
	s_or_b32 exec_lo, exec_lo, s2
	s_clause 0x1
	s_load_b96 s[8:10], s[0:1], 0x24
	s_load_b64 s[2:3], s[0:1], 0x8
	s_add_nc_u64 s[4:5], s[0:1], 44
	s_mov_b32 s11, -1
                                        ; implicit-def: $vgpr6
	s_wait_kmcnt 0x0
	s_add_co_i32 s14, s10, -1
	s_delay_alu instid0(SALU_CYCLE_1)
	s_cmp_lt_u32 s14, 2
	s_cbranch_scc1 .LBB13_15
; %bb.6:
	s_cmp_lg_u32 s10, 0
	s_mov_b32 s11, 0
	s_cbranch_scc0 .LBB13_11
; %bb.7:
	s_min_u32 s15, s14, 15
	s_delay_alu instid0(SALU_CYCLE_1)
	s_add_co_i32 s15, s15, 1
	s_cmp_eq_u32 s14, 2
	s_cbranch_scc1 .LBB13_12
; %bb.8:
	v_dual_mov_b32 v6, 0 :: v_dual_mov_b32 v4, v0
	s_and_b32 s14, s15, 28
	s_add_nc_u64 s[16:17], s[4:5], 0xc4
	s_mov_b32 s20, 0
	s_mov_b64 s[18:19], s[4:5]
.LBB13_9:                               ; =>This Inner Loop Header: Depth=1
	s_clause 0x1
	s_load_b256 s[24:31], s[18:19], 0x4
	s_load_b128 s[36:39], s[18:19], 0x24
	s_load_b128 s[40:43], s[16:17], 0x0
	s_add_co_i32 s20, s20, 4
	s_wait_xcnt 0x0
	s_add_nc_u64 s[18:19], s[18:19], 48
	s_cmp_lg_u32 s14, s20
	s_add_nc_u64 s[16:17], s[16:17], 16
	s_wait_kmcnt 0x0
	v_mul_hi_u32 v5, s25, v4
	s_delay_alu instid0(VALU_DEP_1) | instskip(NEXT) | instid1(VALU_DEP_1)
	v_add_nc_u32_e32 v5, v4, v5
	v_lshrrev_b32_e32 v5, s26, v5
	s_delay_alu instid0(VALU_DEP_1) | instskip(NEXT) | instid1(VALU_DEP_1)
	v_mul_hi_u32 v7, s28, v5
	v_add_nc_u32_e32 v7, v5, v7
	s_delay_alu instid0(VALU_DEP_1) | instskip(NEXT) | instid1(VALU_DEP_1)
	v_lshrrev_b32_e32 v7, s29, v7
	v_mul_hi_u32 v8, s31, v7
	s_delay_alu instid0(VALU_DEP_1) | instskip(SKIP_1) | instid1(VALU_DEP_2)
	v_add_nc_u32_e32 v8, v7, v8
	v_mul_lo_u32 v9, v5, s24
	v_lshrrev_b32_e32 v8, s36, v8
	s_delay_alu instid0(VALU_DEP_1) | instskip(NEXT) | instid1(VALU_DEP_3)
	v_mul_hi_u32 v10, s38, v8
	v_sub_nc_u32_e32 v4, v4, v9
	v_mul_lo_u32 v9, v7, s27
	s_delay_alu instid0(VALU_DEP_1) | instskip(NEXT) | instid1(VALU_DEP_3)
	v_sub_nc_u32_e32 v5, v5, v9
	v_mad_u32 v4, v4, s40, v6
	v_mul_lo_u32 v6, v8, s30
	v_add_nc_u32_e32 v9, v8, v10
	s_delay_alu instid0(VALU_DEP_3) | instskip(NEXT) | instid1(VALU_DEP_2)
	v_mad_u32 v5, v5, s41, v4
	v_dual_lshrrev_b32 v4, s39, v9 :: v_dual_sub_nc_u32 v6, v7, v6
	s_delay_alu instid0(VALU_DEP_1) | instskip(NEXT) | instid1(VALU_DEP_2)
	v_mul_lo_u32 v7, v4, s37
	v_mad_u32 v5, v6, s42, v5
	s_delay_alu instid0(VALU_DEP_2) | instskip(NEXT) | instid1(VALU_DEP_1)
	v_sub_nc_u32_e32 v6, v8, v7
	v_mad_u32 v6, v6, s43, v5
	s_cbranch_scc1 .LBB13_9
; %bb.10:
	s_and_b32 s18, s15, 3
	s_mov_b32 s15, 0
	s_cmp_eq_u32 s18, 0
	s_cbranch_scc0 .LBB13_13
	s_branch .LBB13_15
.LBB13_11:
	v_mov_b32_e32 v6, 0
	s_branch .LBB13_15
.LBB13_12:
	v_dual_mov_b32 v6, 0 :: v_dual_mov_b32 v4, v0
	s_mov_b32 s14, 0
	s_and_b32 s18, s15, 3
	s_mov_b32 s15, 0
	s_cmp_eq_u32 s18, 0
	s_cbranch_scc1 .LBB13_15
.LBB13_13:
	s_lshl_b32 s16, s14, 2
	s_mov_b32 s17, s15
	s_mul_u64 s[20:21], s[14:15], 12
	s_add_nc_u64 s[16:17], s[4:5], s[16:17]
	s_delay_alu instid0(SALU_CYCLE_1)
	s_add_nc_u64 s[14:15], s[16:17], 0xc4
	s_add_nc_u64 s[16:17], s[4:5], s[20:21]
.LBB13_14:                              ; =>This Inner Loop Header: Depth=1
	s_load_b96 s[20:22], s[16:17], 0x4
	s_load_b32 s19, s[14:15], 0x0
	s_add_co_i32 s18, s18, -1
	s_wait_xcnt 0x0
	s_add_nc_u64 s[16:17], s[16:17], 12
	s_cmp_lg_u32 s18, 0
	s_add_nc_u64 s[14:15], s[14:15], 4
	s_wait_kmcnt 0x0
	v_mul_hi_u32 v5, s21, v4
	s_delay_alu instid0(VALU_DEP_1) | instskip(NEXT) | instid1(VALU_DEP_1)
	v_add_nc_u32_e32 v5, v4, v5
	v_lshrrev_b32_e32 v5, s22, v5
	s_delay_alu instid0(VALU_DEP_1) | instskip(NEXT) | instid1(VALU_DEP_1)
	v_mul_lo_u32 v7, v5, s20
	v_sub_nc_u32_e32 v4, v4, v7
	s_delay_alu instid0(VALU_DEP_1)
	v_mad_u32 v6, v4, s19, v6
	v_mov_b32_e32 v4, v5
	s_cbranch_scc1 .LBB13_14
.LBB13_15:
	s_and_not1_b32 vcc_lo, exec_lo, s11
	s_cbranch_vccnz .LBB13_18
; %bb.16:
	s_clause 0x1
	s_load_b96 s[16:18], s[4:5], 0x4
	s_load_b32 s11, s[4:5], 0xc4
	v_dual_mov_b32 v5, 0 :: v_dual_mov_b32 v4, v0
	s_mov_b32 s15, 0
	s_cmp_lt_u32 s10, 2
	s_wait_kmcnt 0x0
	s_mov_b32 s14, s17
	s_delay_alu instid0(SALU_CYCLE_1) | instskip(NEXT) | instid1(VALU_DEP_1)
	v_mul_u64_e32 v[4:5], s[14:15], v[4:5]
	v_add_nc_u32_e32 v4, v5, v0
	s_delay_alu instid0(VALU_DEP_1) | instskip(NEXT) | instid1(VALU_DEP_1)
	v_lshrrev_b32_e32 v4, s18, v4
	v_mul_lo_u32 v5, v4, s16
	s_delay_alu instid0(VALU_DEP_1) | instskip(NEXT) | instid1(VALU_DEP_1)
	v_sub_nc_u32_e32 v5, v0, v5
	v_mul_lo_u32 v6, v5, s11
	s_cbranch_scc1 .LBB13_18
; %bb.17:
	s_clause 0x1
	s_load_b96 s[16:18], s[4:5], 0x10
	s_load_b32 s10, s[4:5], 0xc8
	s_wait_kmcnt 0x0
	v_mul_hi_u32 v5, s17, v4
	s_delay_alu instid0(VALU_DEP_1) | instskip(NEXT) | instid1(VALU_DEP_1)
	v_add_nc_u32_e32 v5, v4, v5
	v_lshrrev_b32_e32 v5, s18, v5
	s_delay_alu instid0(VALU_DEP_1) | instskip(NEXT) | instid1(VALU_DEP_1)
	v_mul_lo_u32 v5, v5, s16
	v_sub_nc_u32_e32 v4, v4, v5
	s_delay_alu instid0(VALU_DEP_1)
	v_mad_u32 v6, v4, s10, v6
.LBB13_18:
	s_delay_alu instid0(VALU_DEP_1)
	v_add_nc_u32_e32 v7, 1, v6
	s_mov_b64 s[4:5], 0xcd9e8d57
	s_mov_b32 s14, 0x2f800000
	s_mov_b32 s11, 0
	s_clause 0x1
	global_load_b64 v[8:9], v7, s[2:3] scale_offset
	global_load_b64 v[4:5], v6, s[2:3] scale_offset
	s_wait_xcnt 0x0
	v_mul_u64_e32 v[6:7], s[12:13], v[0:1]
	s_mov_b64 s[2:3], 0xd2511f53
	s_delay_alu instid0(VALU_DEP_1) | instskip(SKIP_1) | instid1(VALU_DEP_1)
	v_sub_nc_u64_e32 v[2:3], v[2:3], v[6:7]
	s_wait_loadcnt 0x1
	v_add_nc_u64_e32 v[6:7], v[8:9], v[2:3]
	v_mov_b32_e32 v9, 0
	s_delay_alu instid0(VALU_DEP_1) | instskip(SKIP_1) | instid1(VALU_DEP_3)
	v_dual_mov_b32 v13, v9 :: v_dual_mov_b32 v8, v6
	s_wait_loadcnt 0x0
	v_xor_b32_e32 v12, v7, v4
	v_mul_lo_u32 v6, 0xd2511f53, v6
	v_add_nc_u32_e32 v7, 0x9e3779b9, v4
	v_mul_u64_e32 v[10:11], s[2:3], v[8:9]
	s_delay_alu instid0(VALU_DEP_4) | instskip(SKIP_1) | instid1(VALU_DEP_3)
	v_mul_u64_e32 v[14:15], s[2:3], v[12:13]
	v_add_nc_u32_e32 v13, 0x3c6ef372, v4
	v_xor_b32_e32 v8, v11, v5
	s_delay_alu instid0(VALU_DEP_1) | instskip(SKIP_2) | instid1(VALU_DEP_2)
	v_mul_u64_e32 v[10:11], s[4:5], v[8:9]
	v_add_nc_u32_e32 v9, 0xbb67ae85, v5
	v_mul_lo_u32 v8, 0xcd9e8d57, v8
	v_xor3_b32 v6, v6, v9, v15
	v_mul_lo_u32 v9, 0xd2511f53, v12
	v_add_nc_u32_e32 v12, 0x76cf5d0a, v5
	v_xor_b32_e32 v7, v7, v11
	s_delay_alu instid0(VALU_DEP_4) | instskip(SKIP_1) | instid1(VALU_DEP_3)
	v_mul_hi_u32 v11, 0xcd9e8d57, v6
	v_mul_lo_u32 v6, 0xcd9e8d57, v6
	v_mul_hi_u32 v10, 0xd2511f53, v7
	v_mul_lo_u32 v7, 0xd2511f53, v7
	s_delay_alu instid0(VALU_DEP_4) | instskip(SKIP_1) | instid1(VALU_DEP_4)
	v_xor3_b32 v8, v8, v13, v11
	v_add_nc_u32_e32 v13, 0x32370b8f, v5
	v_xor3_b32 v9, v9, v12, v10
	s_delay_alu instid0(VALU_DEP_3) | instskip(SKIP_2) | instid1(VALU_DEP_4)
	v_mul_hi_u32 v11, 0xd2511f53, v8
	v_add_nc_u32_e32 v12, 0xdaa66d2b, v4
	v_mul_lo_u32 v8, 0xd2511f53, v8
	v_mul_hi_u32 v10, 0xcd9e8d57, v9
	v_mul_lo_u32 v9, 0xcd9e8d57, v9
	v_xor3_b32 v7, v7, v13, v11
	v_add_nc_u32_e32 v13, 0x78dde6e4, v4
	s_delay_alu instid0(VALU_DEP_4) | instskip(NEXT) | instid1(VALU_DEP_3)
	v_xor3_b32 v6, v6, v12, v10
	v_mul_hi_u32 v11, 0xcd9e8d57, v7
	v_add_nc_u32_e32 v12, 0xed9eba14, v5
	v_mul_lo_u32 v7, 0xcd9e8d57, v7
	s_delay_alu instid0(VALU_DEP_4) | instskip(SKIP_3) | instid1(VALU_DEP_4)
	v_mul_hi_u32 v10, 0xd2511f53, v6
	v_mul_lo_u32 v6, 0xd2511f53, v6
	v_xor3_b32 v9, v9, v13, v11
	v_add_nc_u32_e32 v13, 0xa9066899, v5
	v_xor3_b32 v8, v8, v12, v10
	s_delay_alu instid0(VALU_DEP_3) | instskip(SKIP_2) | instid1(VALU_DEP_4)
	v_mul_hi_u32 v11, 0xd2511f53, v9
	v_add_nc_u32_e32 v12, 0x1715609d, v4
	v_mul_lo_u32 v9, 0xd2511f53, v9
	v_mul_hi_u32 v10, 0xcd9e8d57, v8
	v_mul_lo_u32 v8, 0xcd9e8d57, v8
	v_xor3_b32 v6, v6, v13, v11
	v_add_nc_u32_e32 v13, 0xb54cda56, v4
	s_delay_alu instid0(VALU_DEP_4) | instskip(NEXT) | instid1(VALU_DEP_3)
	v_xor3_b32 v7, v7, v12, v10
	v_mul_hi_u32 v11, 0xcd9e8d57, v6
	v_add_nc_u32_e32 v12, 0x646e171e, v5
	v_mul_lo_u32 v6, 0xcd9e8d57, v6
	s_delay_alu instid0(VALU_DEP_4) | instskip(SKIP_3) | instid1(VALU_DEP_4)
	v_mul_hi_u32 v10, 0xd2511f53, v7
	v_mul_lo_u32 v7, 0xd2511f53, v7
	v_xor3_b32 v8, v8, v13, v11
	v_add_nc_u32_e32 v13, 0x1fd5c5a3, v5
	v_xor3_b32 v9, v9, v12, v10
	s_delay_alu instid0(VALU_DEP_3) | instskip(SKIP_2) | instid1(VALU_DEP_4)
	v_mul_hi_u32 v11, 0xd2511f53, v8
	v_add_nc_u32_e32 v12, 0x5384540f, v4
	v_mul_lo_u32 v8, 0xd2511f53, v8
	v_mul_hi_u32 v10, 0xcd9e8d57, v9
	v_mul_lo_u32 v9, 0xcd9e8d57, v9
	v_xor3_b32 v7, v7, v13, v11
	v_add_nc_u32_e32 v13, 0xf1bbcdc8, v4
	v_add_nc_u32_e32 v4, 0x8ff34781, v4
	v_xor3_b32 v6, v6, v12, v10
	s_delay_alu instid0(VALU_DEP_4)
	v_mul_hi_u32 v11, 0xcd9e8d57, v7
	v_add_nc_u32_e32 v12, 0xdb3d7428, v5
	v_mul_lo_u32 v7, 0xcd9e8d57, v7
	v_add_nc_u32_e32 v5, 0x96a522ad, v5
	v_mul_hi_u32 v10, 0xd2511f53, v6
	v_mul_lo_u32 v6, 0xd2511f53, v6
	v_xor3_b32 v9, v9, v13, v11
	s_delay_alu instid0(VALU_DEP_3) | instskip(NEXT) | instid1(VALU_DEP_2)
	v_xor3_b32 v8, v8, v12, v10
	v_mul_hi_u32 v11, 0xd2511f53, v9
	v_mul_lo_u32 v9, 0xd2511f53, v9
	s_delay_alu instid0(VALU_DEP_3) | instskip(SKIP_1) | instid1(VALU_DEP_4)
	v_mul_hi_u32 v10, 0xcd9e8d57, v8
	v_mul_lo_u32 v8, 0xcd9e8d57, v8
	v_xor3_b32 v5, v6, v5, v11
	s_delay_alu instid0(VALU_DEP_4) | instskip(NEXT) | instid1(VALU_DEP_4)
	v_cvt_f32_u32_e32 v9, v9
	v_xor3_b32 v4, v7, v4, v10
	s_delay_alu instid0(VALU_DEP_3) | instskip(SKIP_1) | instid1(VALU_DEP_3)
	v_cvt_f32_u32_e32 v5, v5
	v_cvt_f32_u32_e32 v8, v8
	;; [unrolled: 1-line block ×3, first 2 shown]
	s_delay_alu instid0(VALU_DEP_2) | instskip(NEXT) | instid1(VALU_DEP_2)
	v_dual_fmaak_f32 v5, s14, v5, 0x2f000000 :: v_dual_fmaak_f32 v8, s14, v8, 0x2f000000
	v_fmaak_f32 v4, s14, v4, 0x2f000000
	s_delay_alu instid0(VALU_DEP_2) | instskip(NEXT) | instid1(VALU_DEP_2)
	v_cmp_gt_f32_e64 s2, 0x800000, v5
	v_cmp_gt_f32_e32 vcc_lo, 0x800000, v4
	s_delay_alu instid0(VALU_DEP_2)
	v_cndmask_b32_e64 v7, 0, 32, s2
	v_cndmask_b32_e64 v10, 0, 0x41b17218, s2
	s_and_b64 s[2:3], s[6:7], 3
	v_cndmask_b32_e64 v6, 0, 32, vcc_lo
	v_cndmask_b32_e64 v11, 0, 0x41b17218, vcc_lo
	s_cmp_lg_u64 s[2:3], 0
	v_ldexp_f32 v5, v5, v7
	s_cselect_b32 s3, -1, 0
	v_ldexp_f32 v4, v4, v6
	s_ashr_i32 s4, s7, 31
	s_delay_alu instid0(SALU_CYCLE_1) | instskip(SKIP_1) | instid1(VALU_DEP_1)
	s_lshr_b32 s10, s4, 30
	s_load_b64 s[4:5], s[0:1], 0x0
	v_log_f32_e32 v4, v4
	v_log_f32_e32 v5, v5
	s_add_nc_u64 s[12:13], s[6:7], s[10:11]
	v_nop
	s_delay_alu instid0(TRANS32_DEP_1) | instskip(SKIP_1) | instid1(VALU_DEP_2)
	v_dual_mul_f32 v6, 0x3f317217, v4 :: v_dual_mul_f32 v7, 0x3f317217, v5
	v_cmp_gt_f32_e64 vcc_lo, 0x7f800000, |v4|
	v_fma_f32 v6, 0x3f317217, v4, -v6
	s_delay_alu instid0(VALU_DEP_3) | instskip(NEXT) | instid1(VALU_DEP_1)
	v_fma_f32 v7, 0x3f317217, v5, -v7
	v_dual_fmac_f32 v6, 0x3377d1cf, v4 :: v_dual_fmac_f32 v7, 0x3377d1cf, v5
	s_delay_alu instid0(VALU_DEP_1) | instskip(NEXT) | instid1(VALU_DEP_1)
	v_dual_fmac_f32 v6, 0x3f317217, v4 :: v_dual_fmac_f32 v7, 0x3f317217, v5
	v_cndmask_b32_e32 v4, v4, v6, vcc_lo
	v_cmp_gt_f32_e64 vcc_lo, 0x7f800000, |v5|
	s_delay_alu instid0(VALU_DEP_2) | instskip(NEXT) | instid1(VALU_DEP_4)
	v_sub_f32_e32 v4, v4, v11
	v_cndmask_b32_e32 v5, v5, v7, vcc_lo
	v_lshlrev_b64_e32 v[6:7], 2, v[2:3]
	s_delay_alu instid0(VALU_DEP_2) | instskip(NEXT) | instid1(VALU_DEP_1)
	v_dual_sub_f32 v5, v5, v10 :: v_dual_mul_f32 v10, -2.0, v4
	v_dual_mul_f32 v11, -2.0, v5 :: v_dual_mul_f32 v12, 0x4f800000, v10
	v_cmp_gt_f32_e32 vcc_lo, 0xf800000, v10
	s_delay_alu instid0(VALU_DEP_4) | instskip(NEXT) | instid1(VALU_DEP_3)
	v_mad_nc_u64_u32 v[4:5], v0, s6, v[6:7]
	v_mul_f32_e32 v13, 0x4f800000, v11
	v_cmp_gt_f32_e64 s2, 0xf800000, v11
	v_cndmask_b32_e32 v10, v10, v12, vcc_lo
	s_delay_alu instid0(VALU_DEP_1) | instskip(NEXT) | instid1(VALU_DEP_2)
	v_sqrt_f32_e32 v12, v10
	v_cndmask_b32_e64 v11, v11, v13, s2
	v_fmaak_f32 v9, s14, v9, 0x2f000000
	v_mad_u32 v1, v1, s6, v5
	s_delay_alu instid0(TRANS32_DEP_1) | instid1(VALU_DEP_2)
	v_dual_mul_f32 v5, 0x40c90fdb, v9 :: v_dual_add_nc_u32 v16, 1, v12
	v_add_nc_u32_e32 v9, -1, v12
	v_sqrt_f32_e32 v13, v11
	v_nop
	s_delay_alu instid0(TRANS32_DEP_1) | instskip(NEXT) | instid1(VALU_DEP_3)
	v_dual_fma_f32 v20, -v16, v12, v10 :: v_dual_add_nc_u32 v14, -1, v13
	v_dual_add_nc_u32 v15, 1, v13 :: v_dual_fma_f32 v17, -v9, v12, v10
	s_delay_alu instid0(VALU_DEP_1) | instskip(SKIP_1) | instid1(VALU_DEP_2)
	v_dual_fma_f32 v18, -v14, v13, v11 :: v_dual_fma_f32 v19, -v15, v13, v11
	s_wait_xcnt 0x0
	v_cmp_ge_f32_e64 s0, 0, v17
	s_delay_alu instid0(VALU_DEP_1) | instskip(NEXT) | instid1(VALU_DEP_3)
	v_cndmask_b32_e64 v9, v12, v9, s0
	v_cmp_ge_f32_e64 s0, 0, v18
	s_delay_alu instid0(VALU_DEP_1) | instskip(SKIP_3) | instid1(VALU_DEP_3)
	v_cndmask_b32_e64 v12, v13, v14, s0
	v_cmp_lt_f32_e64 s0, 0, v20
	v_dual_mul_f32 v13, 0x40c90fdb, v8 :: v_dual_mul_f32 v8, 0.15915494, v5
	v_mad_u32 v5, v0, s7, v1
	v_cndmask_b32_e64 v9, v9, v16, s0
	v_cmp_lt_f32_e64 s0, 0, v19
	s_delay_alu instid0(VALU_DEP_4) | instskip(SKIP_1) | instid1(VALU_DEP_2)
	v_mul_f32_e32 v13, 0.15915494, v13
	v_cos_f32_e32 v16, v8
	v_cndmask_b32_e64 v12, v12, v15, s0
	v_mul_f32_e32 v14, 0x37800000, v9
	s_delay_alu instid0(VALU_DEP_3)
	v_sin_f32_e32 v1, v13
	v_cos_f32_e32 v0, v13
	s_ashr_i64 s[0:1], s[12:13], 2
	v_mul_f32_e32 v15, 0x37800000, v12
	v_cndmask_b32_e32 v9, v9, v14, vcc_lo
	v_cmp_class_f32_e64 vcc_lo, v10, 0x260
	s_delay_alu instid0(VALU_DEP_1) | instskip(SKIP_1) | instid1(VALU_DEP_2)
	v_dual_cndmask_b32 v12, v12, v15, s2 :: v_dual_cndmask_b32 v10, v9, v10, vcc_lo
	v_cmp_class_f32_e64 vcc_lo, v11, 0x260
	v_pk_mul_f32 v[0:1], v[0:1], v[10:11] op_sel_hi:[1,0]
	s_delay_alu instid0(VALU_DEP_3) | instskip(SKIP_1) | instid1(VALU_DEP_2)
	v_cndmask_b32_e32 v9, v12, v11, vcc_lo
	v_cmp_le_i64_e32 vcc_lo, s[0:1], v[2:3]
	v_mul_f32_e32 v10, v16, v9
	s_or_b32 s0, s3, vcc_lo
	s_delay_alu instid0(SALU_CYCLE_1) | instskip(NEXT) | instid1(SALU_CYCLE_1)
	s_and_saveexec_b32 s1, s0
	s_xor_b32 s0, exec_lo, s1
	s_cbranch_execnz .LBB13_23
; %bb.19:
	s_and_not1_saveexec_b32 s0, s0
	s_cbranch_execnz .LBB13_30
.LBB13_20:
	s_or_b32 exec_lo, exec_lo, s0
	s_delay_alu instid0(SALU_CYCLE_1)
	s_and_b32 exec_lo, exec_lo, s11
	s_cbranch_execz .LBB13_22
.LBB13_21:
	v_sin_f32_e32 v0, v8
	v_nop
	s_delay_alu instid0(TRANS32_DEP_1) | instskip(SKIP_2) | instid1(VALU_DEP_2)
	v_mul_f32_e32 v2, v0, v9
	s_wait_kmcnt 0x0
	v_lshl_add_u64 v[0:1], v[4:5], 1, s[4:5]
	v_fma_mixlo_f16 v2, s9, v2, s8
	global_store_b16 v[0:1], v2, off offset:6
.LBB13_22:
	s_endpgm
.LBB13_23:
	s_mov_b32 s2, 0
	s_mov_b32 s1, exec_lo
	v_cmpx_gt_i64_e64 s[6:7], v[6:7]
	s_cbranch_execz .LBB13_29
; %bb.24:
	v_dual_mov_b32 v13, v7 :: v_dual_bitop2_b32 v12, 1, v6 bitop3:0x54
	s_wait_kmcnt 0x0
	v_lshl_add_u64 v[2:3], v[4:5], 1, s[4:5]
	v_fma_mixlo_f16 v0, s9, v0, s8
	s_mov_b32 s3, 0
	s_mov_b32 s2, exec_lo
	global_store_b16 v[2:3], v0, off
	s_wait_xcnt 0x0
	v_cmpx_gt_u64_e64 s[6:7], v[12:13]
	s_cbranch_execz .LBB13_28
; %bb.25:
	v_dual_mov_b32 v13, v7 :: v_dual_bitop2_b32 v12, 2, v6 bitop3:0x54
	v_fma_mixlo_f16 v0, s9, v1, s8
	s_mov_b32 s10, 0
	s_mov_b32 s3, exec_lo
	global_store_b16 v[2:3], v0, off offset:2
	s_wait_xcnt 0x0
	v_cmpx_gt_u64_e64 s[6:7], v[12:13]
	s_xor_b32 s3, exec_lo, s3
	s_cbranch_execz .LBB13_27
; %bb.26:
	v_or_b32_e32 v6, 3, v6
	v_fma_mixlo_f16 v0, s9, v10, s8
	s_delay_alu instid0(VALU_DEP_2)
	v_cmp_gt_u64_e32 vcc_lo, s[6:7], v[6:7]
	global_store_b16 v[2:3], v0, off offset:4
	s_and_b32 s10, vcc_lo, exec_lo
.LBB13_27:
	s_wait_xcnt 0x0
	s_or_b32 exec_lo, exec_lo, s3
	s_delay_alu instid0(SALU_CYCLE_1)
	s_and_b32 s3, s10, exec_lo
.LBB13_28:
	s_or_b32 exec_lo, exec_lo, s2
	s_delay_alu instid0(SALU_CYCLE_1)
	s_and_b32 s2, s3, exec_lo
.LBB13_29:
	s_or_b32 exec_lo, exec_lo, s1
	s_delay_alu instid0(SALU_CYCLE_1)
	s_and_b32 s11, s2, exec_lo
                                        ; implicit-def: $vgpr10
                                        ; implicit-def: $vgpr0_vgpr1
	s_and_not1_saveexec_b32 s0, s0
	s_cbranch_execz .LBB13_20
.LBB13_30:
	s_mov_b32 s2, s9
	v_fma_mixlo_f16 v6, s9, v10, s8
	v_pk_fma_f32 v[0:1], s[2:3], v[0:1], s[8:9] op_sel_hi:[0,1,0]
	s_wait_kmcnt 0x0
	v_lshl_add_u64 v[2:3], v[4:5], 1, s[4:5]
	s_or_b32 s11, s11, exec_lo
	s_delay_alu instid0(VALU_DEP_2)
	v_cvt_pk_f16_f32 v0, v0, v1
	s_clause 0x1
	global_store_b16 v[2:3], v6, off offset:4
	global_store_b32 v[2:3], v0, off
	s_wait_xcnt 0x0
	s_or_b32 exec_lo, exec_lo, s0
	s_delay_alu instid0(SALU_CYCLE_1)
	s_and_b32 exec_lo, exec_lo, s11
	s_cbranch_execnz .LBB13_21
	s_branch .LBB13_22
	.section	.rodata,"a",@progbits
	.p2align	6, 0x0
	.amdhsa_kernel _ZN2at6native12_GLOBAL__N_123philox_multi_key_kernelIN3c104HalfEZZZZNS0_20_philox_normal_cuda_ERNS_6TensorERKS5_ddENKUlvE_clEvENKUlvE1_clEvENKUlvE_clEvEUlmmE0_ZZZNS0_20_philox_normal_cuda_ES6_S8_ddENKS9_clEvENKSA_clEvEUlfE_EEvPT_PKmllT0_T1_16OffsetCalculatorILi1EjLb0EE
		.amdhsa_group_segment_fixed_size 0
		.amdhsa_private_segment_fixed_size 0
		.amdhsa_kernarg_size 560
		.amdhsa_user_sgpr_count 2
		.amdhsa_user_sgpr_dispatch_ptr 0
		.amdhsa_user_sgpr_queue_ptr 0
		.amdhsa_user_sgpr_kernarg_segment_ptr 1
		.amdhsa_user_sgpr_dispatch_id 0
		.amdhsa_user_sgpr_kernarg_preload_length 0
		.amdhsa_user_sgpr_kernarg_preload_offset 0
		.amdhsa_user_sgpr_private_segment_size 0
		.amdhsa_wavefront_size32 1
		.amdhsa_uses_dynamic_stack 0
		.amdhsa_enable_private_segment 0
		.amdhsa_system_sgpr_workgroup_id_x 1
		.amdhsa_system_sgpr_workgroup_id_y 0
		.amdhsa_system_sgpr_workgroup_id_z 0
		.amdhsa_system_sgpr_workgroup_info 0
		.amdhsa_system_vgpr_workitem_id 0
		.amdhsa_next_free_vgpr 21
		.amdhsa_next_free_sgpr 44
		.amdhsa_named_barrier_count 0
		.amdhsa_reserve_vcc 1
		.amdhsa_float_round_mode_32 0
		.amdhsa_float_round_mode_16_64 0
		.amdhsa_float_denorm_mode_32 3
		.amdhsa_float_denorm_mode_16_64 3
		.amdhsa_fp16_overflow 0
		.amdhsa_memory_ordered 1
		.amdhsa_forward_progress 1
		.amdhsa_inst_pref_size 28
		.amdhsa_round_robin_scheduling 0
		.amdhsa_exception_fp_ieee_invalid_op 0
		.amdhsa_exception_fp_denorm_src 0
		.amdhsa_exception_fp_ieee_div_zero 0
		.amdhsa_exception_fp_ieee_overflow 0
		.amdhsa_exception_fp_ieee_underflow 0
		.amdhsa_exception_fp_ieee_inexact 0
		.amdhsa_exception_int_div_zero 0
	.end_amdhsa_kernel
	.section	.text._ZN2at6native12_GLOBAL__N_123philox_multi_key_kernelIN3c104HalfEZZZZNS0_20_philox_normal_cuda_ERNS_6TensorERKS5_ddENKUlvE_clEvENKUlvE1_clEvENKUlvE_clEvEUlmmE0_ZZZNS0_20_philox_normal_cuda_ES6_S8_ddENKS9_clEvENKSA_clEvEUlfE_EEvPT_PKmllT0_T1_16OffsetCalculatorILi1EjLb0EE,"axG",@progbits,_ZN2at6native12_GLOBAL__N_123philox_multi_key_kernelIN3c104HalfEZZZZNS0_20_philox_normal_cuda_ERNS_6TensorERKS5_ddENKUlvE_clEvENKUlvE1_clEvENKUlvE_clEvEUlmmE0_ZZZNS0_20_philox_normal_cuda_ES6_S8_ddENKS9_clEvENKSA_clEvEUlfE_EEvPT_PKmllT0_T1_16OffsetCalculatorILi1EjLb0EE,comdat
.Lfunc_end13:
	.size	_ZN2at6native12_GLOBAL__N_123philox_multi_key_kernelIN3c104HalfEZZZZNS0_20_philox_normal_cuda_ERNS_6TensorERKS5_ddENKUlvE_clEvENKUlvE1_clEvENKUlvE_clEvEUlmmE0_ZZZNS0_20_philox_normal_cuda_ES6_S8_ddENKS9_clEvENKSA_clEvEUlfE_EEvPT_PKmllT0_T1_16OffsetCalculatorILi1EjLb0EE, .Lfunc_end13-_ZN2at6native12_GLOBAL__N_123philox_multi_key_kernelIN3c104HalfEZZZZNS0_20_philox_normal_cuda_ERNS_6TensorERKS5_ddENKUlvE_clEvENKUlvE1_clEvENKUlvE_clEvEUlmmE0_ZZZNS0_20_philox_normal_cuda_ES6_S8_ddENKS9_clEvENKSA_clEvEUlfE_EEvPT_PKmllT0_T1_16OffsetCalculatorILi1EjLb0EE
                                        ; -- End function
	.set _ZN2at6native12_GLOBAL__N_123philox_multi_key_kernelIN3c104HalfEZZZZNS0_20_philox_normal_cuda_ERNS_6TensorERKS5_ddENKUlvE_clEvENKUlvE1_clEvENKUlvE_clEvEUlmmE0_ZZZNS0_20_philox_normal_cuda_ES6_S8_ddENKS9_clEvENKSA_clEvEUlfE_EEvPT_PKmllT0_T1_16OffsetCalculatorILi1EjLb0EE.num_vgpr, 21
	.set _ZN2at6native12_GLOBAL__N_123philox_multi_key_kernelIN3c104HalfEZZZZNS0_20_philox_normal_cuda_ERNS_6TensorERKS5_ddENKUlvE_clEvENKUlvE1_clEvENKUlvE_clEvEUlmmE0_ZZZNS0_20_philox_normal_cuda_ES6_S8_ddENKS9_clEvENKSA_clEvEUlfE_EEvPT_PKmllT0_T1_16OffsetCalculatorILi1EjLb0EE.num_agpr, 0
	.set _ZN2at6native12_GLOBAL__N_123philox_multi_key_kernelIN3c104HalfEZZZZNS0_20_philox_normal_cuda_ERNS_6TensorERKS5_ddENKUlvE_clEvENKUlvE1_clEvENKUlvE_clEvEUlmmE0_ZZZNS0_20_philox_normal_cuda_ES6_S8_ddENKS9_clEvENKSA_clEvEUlfE_EEvPT_PKmllT0_T1_16OffsetCalculatorILi1EjLb0EE.numbered_sgpr, 44
	.set _ZN2at6native12_GLOBAL__N_123philox_multi_key_kernelIN3c104HalfEZZZZNS0_20_philox_normal_cuda_ERNS_6TensorERKS5_ddENKUlvE_clEvENKUlvE1_clEvENKUlvE_clEvEUlmmE0_ZZZNS0_20_philox_normal_cuda_ES6_S8_ddENKS9_clEvENKSA_clEvEUlfE_EEvPT_PKmllT0_T1_16OffsetCalculatorILi1EjLb0EE.num_named_barrier, 0
	.set _ZN2at6native12_GLOBAL__N_123philox_multi_key_kernelIN3c104HalfEZZZZNS0_20_philox_normal_cuda_ERNS_6TensorERKS5_ddENKUlvE_clEvENKUlvE1_clEvENKUlvE_clEvEUlmmE0_ZZZNS0_20_philox_normal_cuda_ES6_S8_ddENKS9_clEvENKSA_clEvEUlfE_EEvPT_PKmllT0_T1_16OffsetCalculatorILi1EjLb0EE.private_seg_size, 0
	.set _ZN2at6native12_GLOBAL__N_123philox_multi_key_kernelIN3c104HalfEZZZZNS0_20_philox_normal_cuda_ERNS_6TensorERKS5_ddENKUlvE_clEvENKUlvE1_clEvENKUlvE_clEvEUlmmE0_ZZZNS0_20_philox_normal_cuda_ES6_S8_ddENKS9_clEvENKSA_clEvEUlfE_EEvPT_PKmllT0_T1_16OffsetCalculatorILi1EjLb0EE.uses_vcc, 1
	.set _ZN2at6native12_GLOBAL__N_123philox_multi_key_kernelIN3c104HalfEZZZZNS0_20_philox_normal_cuda_ERNS_6TensorERKS5_ddENKUlvE_clEvENKUlvE1_clEvENKUlvE_clEvEUlmmE0_ZZZNS0_20_philox_normal_cuda_ES6_S8_ddENKS9_clEvENKSA_clEvEUlfE_EEvPT_PKmllT0_T1_16OffsetCalculatorILi1EjLb0EE.uses_flat_scratch, 0
	.set _ZN2at6native12_GLOBAL__N_123philox_multi_key_kernelIN3c104HalfEZZZZNS0_20_philox_normal_cuda_ERNS_6TensorERKS5_ddENKUlvE_clEvENKUlvE1_clEvENKUlvE_clEvEUlmmE0_ZZZNS0_20_philox_normal_cuda_ES6_S8_ddENKS9_clEvENKSA_clEvEUlfE_EEvPT_PKmllT0_T1_16OffsetCalculatorILi1EjLb0EE.has_dyn_sized_stack, 0
	.set _ZN2at6native12_GLOBAL__N_123philox_multi_key_kernelIN3c104HalfEZZZZNS0_20_philox_normal_cuda_ERNS_6TensorERKS5_ddENKUlvE_clEvENKUlvE1_clEvENKUlvE_clEvEUlmmE0_ZZZNS0_20_philox_normal_cuda_ES6_S8_ddENKS9_clEvENKSA_clEvEUlfE_EEvPT_PKmllT0_T1_16OffsetCalculatorILi1EjLb0EE.has_recursion, 0
	.set _ZN2at6native12_GLOBAL__N_123philox_multi_key_kernelIN3c104HalfEZZZZNS0_20_philox_normal_cuda_ERNS_6TensorERKS5_ddENKUlvE_clEvENKUlvE1_clEvENKUlvE_clEvEUlmmE0_ZZZNS0_20_philox_normal_cuda_ES6_S8_ddENKS9_clEvENKSA_clEvEUlfE_EEvPT_PKmllT0_T1_16OffsetCalculatorILi1EjLb0EE.has_indirect_call, 0
	.section	.AMDGPU.csdata,"",@progbits
; Kernel info:
; codeLenInByte = 3580
; TotalNumSgprs: 46
; NumVgprs: 21
; ScratchSize: 0
; MemoryBound: 0
; FloatMode: 240
; IeeeMode: 1
; LDSByteSize: 0 bytes/workgroup (compile time only)
; SGPRBlocks: 0
; VGPRBlocks: 1
; NumSGPRsForWavesPerEU: 46
; NumVGPRsForWavesPerEU: 21
; NamedBarCnt: 0
; Occupancy: 16
; WaveLimiterHint : 1
; COMPUTE_PGM_RSRC2:SCRATCH_EN: 0
; COMPUTE_PGM_RSRC2:USER_SGPR: 2
; COMPUTE_PGM_RSRC2:TRAP_HANDLER: 0
; COMPUTE_PGM_RSRC2:TGID_X_EN: 1
; COMPUTE_PGM_RSRC2:TGID_Y_EN: 0
; COMPUTE_PGM_RSRC2:TGID_Z_EN: 0
; COMPUTE_PGM_RSRC2:TIDIG_COMP_CNT: 0
	.section	.text._ZN2at6native12_GLOBAL__N_124philox_single_key_kernelIN3c108BFloat16EZZZZNS0_20_philox_normal_cuda_ERNS_6TensorERKS5_ddENKUlvE_clEvENKUlvE2_clEvENKUlvE_clEvEUlmmE0_ZZZNS0_20_philox_normal_cuda_ES6_S8_ddENKS9_clEvENKSA_clEvEUlfE_EEvPT_PKmlT0_T1_,"axG",@progbits,_ZN2at6native12_GLOBAL__N_124philox_single_key_kernelIN3c108BFloat16EZZZZNS0_20_philox_normal_cuda_ERNS_6TensorERKS5_ddENKUlvE_clEvENKUlvE2_clEvENKUlvE_clEvEUlmmE0_ZZZNS0_20_philox_normal_cuda_ES6_S8_ddENKS9_clEvENKSA_clEvEUlfE_EEvPT_PKmlT0_T1_,comdat
	.globl	_ZN2at6native12_GLOBAL__N_124philox_single_key_kernelIN3c108BFloat16EZZZZNS0_20_philox_normal_cuda_ERNS_6TensorERKS5_ddENKUlvE_clEvENKUlvE2_clEvENKUlvE_clEvEUlmmE0_ZZZNS0_20_philox_normal_cuda_ES6_S8_ddENKS9_clEvENKSA_clEvEUlfE_EEvPT_PKmlT0_T1_ ; -- Begin function _ZN2at6native12_GLOBAL__N_124philox_single_key_kernelIN3c108BFloat16EZZZZNS0_20_philox_normal_cuda_ERNS_6TensorERKS5_ddENKUlvE_clEvENKUlvE2_clEvENKUlvE_clEvEUlmmE0_ZZZNS0_20_philox_normal_cuda_ES6_S8_ddENKS9_clEvENKSA_clEvEUlfE_EEvPT_PKmlT0_T1_
	.p2align	8
	.type	_ZN2at6native12_GLOBAL__N_124philox_single_key_kernelIN3c108BFloat16EZZZZNS0_20_philox_normal_cuda_ERNS_6TensorERKS5_ddENKUlvE_clEvENKUlvE2_clEvENKUlvE_clEvEUlmmE0_ZZZNS0_20_philox_normal_cuda_ES6_S8_ddENKS9_clEvENKSA_clEvEUlfE_EEvPT_PKmlT0_T1_,@function
_ZN2at6native12_GLOBAL__N_124philox_single_key_kernelIN3c108BFloat16EZZZZNS0_20_philox_normal_cuda_ERNS_6TensorERKS5_ddENKUlvE_clEvENKUlvE2_clEvENKUlvE_clEvEUlmmE0_ZZZNS0_20_philox_normal_cuda_ES6_S8_ddENKS9_clEvENKSA_clEvEUlfE_EEvPT_PKmlT0_T1_: ; @_ZN2at6native12_GLOBAL__N_124philox_single_key_kernelIN3c108BFloat16EZZZZNS0_20_philox_normal_cuda_ERNS_6TensorERKS5_ddENKUlvE_clEvENKUlvE2_clEvENKUlvE_clEvEUlmmE0_ZZZNS0_20_philox_normal_cuda_ES6_S8_ddENKS9_clEvENKSA_clEvEUlfE_EEvPT_PKmlT0_T1_
; %bb.0:
	s_clause 0x3
	s_load_b64 s[16:17], s[2:3], 0x10
	s_load_b32 s8, s[2:3], 0x34
	s_load_b128 s[4:7], s[2:3], 0x0
	s_load_b64 s[12:13], s[2:3], 0x1c
	s_wait_xcnt 0x0
	s_bfe_u32 s2, ttmp6, 0x4000c
	s_mov_b32 s3, 0
	s_add_co_i32 s2, s2, 1
	s_and_b32 s9, ttmp6, 15
	s_mul_i32 s18, ttmp9, s2
	s_getreg_b32 s10, hwreg(HW_REG_IB_STS2, 6, 4)
	v_mov_b32_e32 v3, 0
	v_and_b32_e32 v2, 0x3ff, v0
	s_wait_kmcnt 0x0
	s_ashr_i32 s11, s17, 31
	s_and_b32 s19, s8, 0xffff
	s_lshr_b32 s2, s11, 30
	s_delay_alu instid0(SALU_CYCLE_1) | instskip(NEXT) | instid1(SALU_CYCLE_1)
	s_add_nc_u64 s[2:3], s[16:17], s[2:3]
	s_ashr_i64 s[14:15], s[2:3], 2
	s_add_co_i32 s2, s9, s18
	s_cmp_eq_u32 s10, 0
	s_load_b128 s[8:11], s[6:7], 0x0
	s_cselect_b32 s2, ttmp9, s2
	s_wait_xcnt 0x0
	s_mov_b32 s6, exec_lo
	v_mad_nc_u64_u32 v[4:5], s19, s2, v[2:3]
	s_delay_alu instid0(VALU_DEP_1)
	v_cmpx_gt_i64_e64 s[14:15], v[4:5]
	s_cbranch_execz .LBB14_2
; %bb.1:
	s_wait_kmcnt 0x0
	v_add_nc_u64_e32 v[6:7], s[10:11], v[4:5]
	v_mov_b32_e32 v9, v3
	s_mov_b64 s[2:3], 0xd2511f53
	v_mov_b32_e32 v11, v3
	s_mov_b32 s7, 0x2f800000
	s_mov_b32 s18, s13
	s_delay_alu instid0(VALU_DEP_3) | instskip(SKIP_1) | instid1(VALU_DEP_2)
	v_dual_mov_b32 v8, v6 :: v_dual_bitop2_b32 v10, s8, v7 bitop3:0x14
	v_mul_lo_u32 v1, 0xd2511f53, v6
	v_mul_u64_e32 v[8:9], s[2:3], v[8:9]
	s_delay_alu instid0(VALU_DEP_3) | instskip(SKIP_2) | instid1(VALU_DEP_3)
	v_mul_u64_e32 v[12:13], s[2:3], v[10:11]
	v_mov_b32_e32 v15, v3
	s_mov_b64 s[2:3], 0xcd9e8d57
	v_xor_b32_e32 v14, s9, v9
	s_delay_alu instid0(VALU_DEP_1)
	v_mul_u64_e32 v[8:9], s[2:3], v[14:15]
	s_add_co_i32 s2, s9, 0xbb67ae85
	v_mul_lo_u32 v3, 0xcd9e8d57, v14
	v_xor3_b32 v1, v1, s2, v13
	s_add_co_i32 s2, s8, 0x9e3779b9
	s_add_co_i32 s3, s8, 0x3c6ef372
	s_delay_alu instid0(VALU_DEP_1) | instskip(SKIP_1) | instid1(VALU_DEP_2)
	v_mul_hi_u32 v6, 0xcd9e8d57, v1
	v_mul_lo_u32 v1, 0xcd9e8d57, v1
	v_xor3_b32 v3, v3, s3, v6
	v_mul_lo_u32 v6, 0xd2511f53, v10
	v_xor_b32_e32 v7, s2, v9
	s_add_co_i32 s2, s9, 0x76cf5d0a
	s_delay_alu instid0(VALU_DEP_3) | instskip(SKIP_1) | instid1(VALU_DEP_3)
	v_mul_hi_u32 v9, 0xd2511f53, v3
	v_mul_lo_u32 v3, 0xd2511f53, v3
	v_mul_hi_u32 v8, 0xd2511f53, v7
	v_mul_lo_u32 v7, 0xd2511f53, v7
	s_delay_alu instid0(VALU_DEP_2)
	v_xor3_b32 v6, v6, s2, v8
	s_add_co_i32 s2, s9, 0x32370b8f
	s_delay_alu instid0(VALU_DEP_2) | instid1(SALU_CYCLE_1)
	v_xor3_b32 v7, v7, s2, v9
	s_add_co_i32 s2, s8, 0xdaa66d2b
	s_delay_alu instid0(VALU_DEP_2) | instskip(SKIP_1) | instid1(VALU_DEP_3)
	v_mul_hi_u32 v8, 0xcd9e8d57, v6
	v_mul_lo_u32 v6, 0xcd9e8d57, v6
	v_mul_hi_u32 v9, 0xcd9e8d57, v7
	v_mul_lo_u32 v7, 0xcd9e8d57, v7
	s_delay_alu instid0(VALU_DEP_4)
	v_xor3_b32 v1, v1, s2, v8
	s_add_co_i32 s2, s8, 0x78dde6e4
	s_delay_alu instid0(VALU_DEP_3) | instid1(SALU_CYCLE_1)
	v_xor3_b32 v6, v6, s2, v9
	s_add_co_i32 s2, s9, 0xed9eba14
	s_delay_alu instid0(VALU_DEP_2) | instskip(SKIP_1) | instid1(VALU_DEP_3)
	v_mul_hi_u32 v8, 0xd2511f53, v1
	v_mul_lo_u32 v1, 0xd2511f53, v1
	v_mul_hi_u32 v9, 0xd2511f53, v6
	v_mul_lo_u32 v6, 0xd2511f53, v6
	s_delay_alu instid0(VALU_DEP_4)
	v_xor3_b32 v3, v3, s2, v8
	s_add_co_i32 s2, s9, 0xa9066899
	s_delay_alu instid0(VALU_DEP_3) | instid1(SALU_CYCLE_1)
	;; [unrolled: 11-line block ×6, first 2 shown]
	v_xor3_b32 v1, v1, s2, v9
	s_add_co_i32 s2, s8, 0x8ff34781
	s_delay_alu instid0(VALU_DEP_2) | instskip(NEXT) | instid1(VALU_DEP_4)
	v_mul_hi_u32 v8, 0xcd9e8d57, v3
	v_cvt_f32_u32_e32 v6, v6
	v_mul_lo_u32 v3, 0xcd9e8d57, v3
	v_cvt_f32_u32_e32 v1, v1
	s_delay_alu instid0(VALU_DEP_1) | instskip(SKIP_1) | instid1(VALU_DEP_2)
	v_dual_fmaak_f32 v6, s7, v6, 0x2f000000 :: v_dual_fmaak_f32 v1, s7, v1, 0x2f000000
	v_xor3_b32 v7, v7, s2, v8
	v_mul_f32_e32 v6, 0x40c90fdb, v6
	s_delay_alu instid0(VALU_DEP_3) | instskip(SKIP_1) | instid1(VALU_DEP_4)
	v_cmp_gt_f32_e32 vcc_lo, 0x800000, v1
	v_cvt_f32_u32_e32 v3, v3
	v_cvt_f32_u32_e32 v7, v7
	v_cndmask_b32_e64 v8, 0, 32, vcc_lo
	v_cndmask_b32_e64 v10, 0, 0x41b17218, vcc_lo
	s_delay_alu instid0(VALU_DEP_4) | instskip(NEXT) | instid1(VALU_DEP_4)
	v_fmaak_f32 v3, s7, v3, 0x2f000000
	v_fmaak_f32 v7, s7, v7, 0x2f000000
	s_delay_alu instid0(VALU_DEP_4) | instskip(NEXT) | instid1(VALU_DEP_3)
	v_ldexp_f32 v1, v1, v8
	v_mul_f32_e32 v3, 0x40c90fdb, v3
	s_delay_alu instid0(VALU_DEP_3) | instskip(NEXT) | instid1(VALU_DEP_3)
	v_cmp_gt_f32_e64 s2, 0x800000, v7
	v_log_f32_e32 v1, v1
	s_delay_alu instid0(VALU_DEP_1) | instskip(NEXT) | instid1(TRANS32_DEP_1)
	v_cndmask_b32_e64 v8, 0, 32, s2
	v_mul_f32_e32 v9, 0x3f317217, v1
	s_delay_alu instid0(VALU_DEP_2) | instskip(SKIP_1) | instid1(VALU_DEP_3)
	v_ldexp_f32 v7, v7, v8
	v_cmp_gt_f32_e64 vcc_lo, 0x7f800000, |v1|
	v_fma_f32 v8, 0x3f317217, v1, -v9
	s_delay_alu instid0(VALU_DEP_3) | instskip(SKIP_1) | instid1(TRANS32_DEP_1)
	v_log_f32_e32 v7, v7
	v_nop
	v_mul_f32_e32 v9, 0x3f317217, v7
	s_delay_alu instid0(VALU_DEP_1) | instskip(NEXT) | instid1(VALU_DEP_1)
	v_fma_f32 v9, 0x3f317217, v7, -v9
	v_dual_fmac_f32 v8, 0x3377d1cf, v1 :: v_dual_fmac_f32 v9, 0x3377d1cf, v7
	s_delay_alu instid0(VALU_DEP_1) | instskip(NEXT) | instid1(VALU_DEP_1)
	v_dual_fmac_f32 v8, 0x3f317217, v1 :: v_dual_fmac_f32 v9, 0x3f317217, v7
	v_cndmask_b32_e32 v1, v1, v8, vcc_lo
	v_cmp_gt_f32_e64 vcc_lo, 0x7f800000, |v7|
	v_cndmask_b32_e64 v8, 0, 0x41b17218, s2
	s_delay_alu instid0(VALU_DEP_2) | instskip(NEXT) | instid1(VALU_DEP_1)
	v_dual_sub_f32 v1, v1, v10 :: v_dual_cndmask_b32 v7, v7, v9, vcc_lo
	v_dual_mul_f32 v1, -2.0, v1 :: v_dual_sub_f32 v7, v7, v8
	s_delay_alu instid0(VALU_DEP_1) | instskip(SKIP_1) | instid1(VALU_DEP_2)
	v_mul_f32_e32 v9, 0x4f800000, v1
	v_cmp_gt_f32_e32 vcc_lo, 0xf800000, v1
	v_dual_mul_f32 v7, -2.0, v7 :: v_dual_cndmask_b32 v1, v1, v9, vcc_lo
	s_delay_alu instid0(VALU_DEP_1) | instskip(SKIP_1) | instid1(VALU_DEP_3)
	v_mul_f32_e32 v9, 0x4f800000, v7
	v_cmp_gt_f32_e64 s2, 0xf800000, v7
	v_sqrt_f32_e32 v8, v1
	v_nop
	s_delay_alu instid0(TRANS32_DEP_1) | instskip(SKIP_1) | instid1(VALU_DEP_2)
	v_dual_cndmask_b32 v11, v7, v9, s2 :: v_dual_add_nc_u32 v7, 1, v8
	v_add_nc_u32_e32 v10, -1, v8
	v_sqrt_f32_e32 v12, v11
	s_delay_alu instid0(VALU_DEP_1) | instskip(NEXT) | instid1(VALU_DEP_1)
	v_dual_fma_f32 v13, -v7, v8, v1 :: v_dual_fma_f32 v9, -v10, v8, v1
	v_cmp_ge_f32_e64 s3, 0, v9
	s_delay_alu instid0(TRANS32_DEP_1) | instid1(VALU_DEP_1)
	v_dual_add_nc_u32 v9, -1, v12 :: v_dual_cndmask_b32 v8, v8, v10, s3
	s_delay_alu instid0(VALU_DEP_3) | instskip(SKIP_1) | instid1(VALU_DEP_2)
	v_cmp_lt_f32_e64 s3, 0, v13
	v_dual_mul_f32 v10, 0.15915494, v6 :: v_dual_add_nc_u32 v13, 1, v12
	v_dual_cndmask_b32 v8, v8, v7, s3 :: v_dual_fma_f32 v7, -v9, v12, v11
	s_delay_alu instid0(VALU_DEP_2) | instskip(NEXT) | instid1(VALU_DEP_1)
	v_sin_f32_e32 v6, v10
	v_cmp_ge_f32_e64 s3, 0, v7
	s_delay_alu instid0(VALU_DEP_3) | instskip(SKIP_1) | instid1(VALU_DEP_2)
	v_fma_f32 v15, -v13, v12, v11
	v_cos_f32_e32 v7, v10
	v_cndmask_b32_e64 v9, v12, v9, s3
	v_mul_f32_e32 v14, 0x37800000, v8
	s_delay_alu instid0(VALU_DEP_1) | instskip(SKIP_1) | instid1(VALU_DEP_4)
	v_cndmask_b32_e32 v8, v8, v14, vcc_lo
	v_cmp_lt_f32_e32 vcc_lo, 0, v15
	v_cndmask_b32_e32 v9, v9, v13, vcc_lo
	v_cmp_class_f32_e64 vcc_lo, v1, 0x260
	s_delay_alu instid0(VALU_DEP_4) | instskip(NEXT) | instid1(VALU_DEP_3)
	v_cndmask_b32_e32 v8, v8, v1, vcc_lo
	v_mul_f32_e32 v1, 0x37800000, v9
	v_mul_f32_e32 v3, 0.15915494, v3
	v_cmp_class_f32_e64 vcc_lo, v11, 0x260
	s_delay_alu instid0(VALU_DEP_4) | instskip(NEXT) | instid1(VALU_DEP_4)
	v_pk_mul_f32 v[6:7], v[6:7], v[8:9] op_sel_hi:[1,0]
	v_cndmask_b32_e64 v1, v9, v1, s2
	s_delay_alu instid0(VALU_DEP_4) | instskip(SKIP_1) | instid1(VALU_DEP_2)
	v_sin_f32_e32 v8, v3
	v_cos_f32_e32 v9, v3
	v_pk_fma_f32 v[6:7], s[18:19], v[6:7], s[12:13] op_sel_hi:[0,1,0]
	s_delay_alu instid0(VALU_DEP_2) | instskip(NEXT) | instid1(VALU_DEP_2)
	v_cndmask_b32_e32 v10, v1, v11, vcc_lo
	v_bfe_u32 v1, v6, 16, 1
	s_delay_alu instid0(TRANS32_DEP_1) | instid1(VALU_DEP_2)
	v_pk_mul_f32 v[8:9], v[8:9], v[10:11] op_sel_hi:[1,0]
	s_delay_alu instid0(VALU_DEP_4) | instskip(SKIP_1) | instid1(VALU_DEP_4)
	v_bfe_u32 v3, v7, 16, 1
	v_cmp_o_f32_e32 vcc_lo, v6, v6
	v_add3_u32 v1, v6, v1, 0x7fff
	s_delay_alu instid0(VALU_DEP_4) | instskip(NEXT) | instid1(VALU_DEP_4)
	v_pk_fma_f32 v[8:9], s[18:19], v[8:9], s[12:13] op_sel_hi:[0,1,0]
	v_add3_u32 v3, v7, v3, 0x7fff
	s_delay_alu instid0(VALU_DEP_3) | instskip(NEXT) | instid1(VALU_DEP_3)
	v_and_b32_e32 v1, 0xffff0000, v1
	v_bfe_u32 v10, v8, 16, 1
	s_delay_alu instid0(VALU_DEP_4) | instskip(NEXT) | instid1(VALU_DEP_3)
	v_bfe_u32 v11, v9, 16, 1
	v_cndmask_b32_e32 v1, 0x7fc00000, v1, vcc_lo
	s_delay_alu instid0(VALU_DEP_3) | instskip(NEXT) | instid1(VALU_DEP_3)
	v_add3_u32 v6, v8, v10, 0x7fff
	v_add3_u32 v10, v9, v11, 0x7fff
	v_lshrrev_b32_e32 v3, 16, v3
	v_cmp_o_f32_e32 vcc_lo, v7, v7
	s_delay_alu instid0(VALU_DEP_4) | instskip(NEXT) | instid1(VALU_DEP_4)
	v_and_b32_e32 v6, 0xffff0000, v6
	v_lshrrev_b32_e32 v7, 16, v10
	s_delay_alu instid0(VALU_DEP_4) | instskip(SKIP_1) | instid1(VALU_DEP_2)
	v_cndmask_b32_e32 v3, 0x7fc0, v3, vcc_lo
	v_cmp_o_f32_e32 vcc_lo, v8, v8
	v_or_b32_e32 v1, v1, v3
	v_cndmask_b32_e32 v3, 0x7fc00000, v6, vcc_lo
	v_cmp_o_f32_e32 vcc_lo, v9, v9
	s_delay_alu instid0(VALU_DEP_3) | instskip(SKIP_2) | instid1(VALU_DEP_2)
	v_or3_b32 v9, v1, 0, 0
	v_cndmask_b32_e32 v8, 0x7fc0, v7, vcc_lo
	v_lshl_add_u64 v[6:7], v[4:5], 3, s[4:5]
	v_or3_b32 v8, 0, v3, v8
	global_store_b64 v[6:7], v[8:9], off
.LBB14_2:
	s_wait_xcnt 0x0
	s_or_b32 exec_lo, exec_lo, s6
	s_delay_alu instid0(SALU_CYCLE_1)
	s_mov_b32 s2, exec_lo
	v_cmpx_eq_u64_e64 s[14:15], v[4:5]
	s_cbranch_execz .LBB14_11
; %bb.3:
	s_wait_kmcnt 0x0
	s_add_nc_u64 s[2:3], s[10:11], s[14:15]
	s_mov_b64 s[6:7], 0xffffffff
	s_mov_b64 s[10:11], 0xd2511f53
	s_and_b64 s[6:7], s[2:3], s[6:7]
	s_mov_b32 s19, 0
	s_mul_u64 s[6:7], s[6:7], s[10:11]
	s_mul_i32 s20, s2, 0xd2511f53
	s_xor_b32 s2, s3, s8
	s_xor_b64 s[6:7], s[6:7], s[8:9]
	s_mov_b32 s3, s19
	s_mov_b32 s18, s7
	s_mul_i32 s23, s2, 0xd2511f53
	s_mul_u64 s[2:3], s[2:3], s[10:11]
	s_mov_b64 s[10:11], 0xcd9e8d57
	s_add_co_i32 s22, s9, 0xbb67ae85
	s_mul_i32 s2, s7, 0xcd9e8d57
	s_mul_u64 s[6:7], s[18:19], s[10:11]
	s_add_co_i32 s21, s8, 0x9e3779b9
	s_xor_b32 s6, s20, s22
	s_xor_b32 s7, s21, s7
	s_xor_b32 s3, s6, s3
	s_add_co_i32 s6, s8, 0x3c6ef372
	s_add_co_i32 s10, s9, 0x76cf5d0a
	s_mul_i32 s11, s7, 0xd2511f53
	s_mul_hi_u32 s7, s7, 0xd2511f53
	s_mul_i32 s18, s3, 0xcd9e8d57
	s_mul_hi_u32 s3, s3, 0xcd9e8d57
	s_xor_b32 s2, s2, s6
	s_xor_b32 s6, s23, s10
	s_xor_b32 s2, s2, s3
	s_xor_b32 s3, s6, s7
	s_add_co_i32 s6, s8, 0xdaa66d2b
	s_add_co_i32 s7, s9, 0x32370b8f
	s_mul_i32 s10, s2, 0xd2511f53
	s_mul_hi_u32 s2, s2, 0xd2511f53
	s_mul_i32 s19, s3, 0xcd9e8d57
	s_mul_hi_u32 s3, s3, 0xcd9e8d57
	s_xor_b32 s6, s18, s6
	;; [unrolled: 10-line block ×5, first 2 shown]
	s_xor_b32 s7, s10, s7
	s_xor_b32 s2, s6, s2
	;; [unrolled: 1-line block ×3, first 2 shown]
	s_add_co_i32 s6, s8, 0x5384540f
	s_add_co_i32 s7, s9, 0x1fd5c5a3
	s_mul_hi_u32 s10, s2, 0xd2511f53
	s_mul_i32 s19, s3, 0xcd9e8d57
	s_mul_hi_u32 s3, s3, 0xcd9e8d57
	s_xor_b32 s6, s18, s6
	s_xor_b32 s7, s11, s7
	;; [unrolled: 1-line block ×4, first 2 shown]
	s_add_co_i32 s7, s8, 0xf1bbcdc8
	s_mul_hi_u32 s10, s6, 0xcd9e8d57
	s_xor_b32 s7, s19, s7
	s_mul_i32 s11, s3, 0xd2511f53
	s_xor_b32 s7, s7, s10
	s_add_co_i32 s10, s9, 0x96a522ad
	s_mul_hi_u32 s18, s7, 0xd2511f53
	s_xor_b32 s10, s11, s10
	s_mov_b32 s11, 0x2f800000
	s_xor_b32 s10, s10, s18
	s_mul_i32 s2, s2, 0xd2511f53
	s_cvt_f32_u32 s10, s10
	s_mul_hi_u32 s3, s3, 0xd2511f53
	s_mul_i32 s6, s6, 0xcd9e8d57
	s_mul_i32 s7, s7, 0xd2511f53
	s_fmaak_f32 s10, s10, s11, 0x2f000000
	v_bfe_u32 v1, v0, 10, 10
	v_bfe_u32 v4, v0, 20, 10
	s_delay_alu instid0(SALU_CYCLE_1) | instskip(SKIP_3) | instid1(SALU_CYCLE_3)
	s_cmp_lt_f32 s10, 0x800000
	s_cselect_b32 s18, 0x4f800000, 1.0
	s_cselect_b32 s19, 0x41b17218, 0
	s_mul_f32 s10, s10, s18
	v_s_log_f32 s10, s10
	s_delay_alu instid0(TRANS32_DEP_1) | instskip(SKIP_1) | instid1(SALU_CYCLE_2)
	s_mul_f32 s18, s10, 0x3f317217
	s_and_b32 s20, s10, 0x7fffffff
	s_xor_b32 s18, s18, 0x80000000
	s_cmp_lt_f32 s20, 0x7f800000
	s_fmamk_f32 s18, s10, 0x3f317217, s18
	s_delay_alu instid0(SALU_CYCLE_3) | instskip(NEXT) | instid1(SALU_CYCLE_3)
	s_fmamk_f32 s18, s10, 0x3377d1cf, s18
	s_fmamk_f32 s18, s10, 0x3f317217, s18
	s_delay_alu instid0(SALU_CYCLE_3) | instskip(NEXT) | instid1(SALU_CYCLE_1)
	s_cselect_b32 s10, s18, s10
	s_sub_f32 s10, s10, s19
	s_delay_alu instid0(SALU_CYCLE_3) | instskip(NEXT) | instid1(SALU_CYCLE_3)
	s_mul_f32 s10, s10, -2.0
	s_mul_f32 s18, s10, 0x4f800000
	s_cmp_lt_f32 s10, 0xf800000
	s_delay_alu instid0(SALU_CYCLE_2) | instskip(NEXT) | instid1(SALU_CYCLE_1)
	s_cselect_b32 s18, s18, s10
	v_s_sqrt_f32 s19, s18
	s_mov_b32 s22, s18
	s_delay_alu instid0(TRANS32_DEP_1) | instskip(NEXT) | instid1(SALU_CYCLE_1)
	s_add_co_i32 s20, s19, -1
	s_xor_b32 s21, s20, 0x80000000
	s_delay_alu instid0(SALU_CYCLE_1) | instskip(NEXT) | instid1(SALU_CYCLE_3)
	s_fmac_f32 s22, s21, s19
	s_cmp_le_f32 s22, 0
	s_mov_b32 s22, s18
	s_cselect_b32 s20, s20, s19
	s_add_co_i32 s21, s19, 1
	s_delay_alu instid0(SALU_CYCLE_1) | instskip(NEXT) | instid1(SALU_CYCLE_1)
	s_xor_b32 s23, s21, 0x80000000
	s_fmac_f32 s22, s23, s19
	s_delay_alu instid0(SALU_CYCLE_3) | instskip(SKIP_3) | instid1(SALU_CYCLE_3)
	s_cmp_gt_f32 s22, 0
	s_cselect_b32 s19, s21, s20
	s_cmp_lt_f32 s10, 0xf800000
	s_mul_f32 s10, s19, 0x37800000
	s_cselect_b32 s10, s10, s19
	s_add_co_i32 s9, s9, 0xdb3d7428
	s_add_co_i32 s8, s8, 0x8ff34781
	s_xor_b32 s2, s2, s9
	s_delay_alu instid0(SALU_CYCLE_1)
	s_xor_b32 s9, s2, s3
	s_xor_b32 s2, s6, s8
	s_mul_hi_u32 s3, s9, 0xcd9e8d57
	s_mul_i32 s9, s9, 0xcd9e8d57
	s_xor_b32 s2, s2, s3
	s_cvt_f32_u32 s9, s9
	s_cvt_f32_u32 s2, s2
	s_delay_alu instid0(SALU_CYCLE_2) | instskip(NEXT) | instid1(SALU_CYCLE_2)
	s_fmaak_f32 s9, s9, s11, 0x2f000000
	s_fmaak_f32 s2, s2, s11, 0x2f000000
	s_delay_alu instid0(SALU_CYCLE_3) | instskip(SKIP_3) | instid1(SALU_CYCLE_3)
	s_cmp_lt_f32 s2, 0x800000
	s_cselect_b32 s3, 0x4f800000, 1.0
	s_cselect_b32 s6, 0x41b17218, 0
	s_mul_f32 s2, s2, s3
	v_s_log_f32 s2, s2
	s_delay_alu instid0(TRANS32_DEP_1) | instskip(SKIP_1) | instid1(SALU_CYCLE_2)
	s_mul_f32 s3, s2, 0x3f317217
	s_and_b32 s8, s2, 0x7fffffff
	s_xor_b32 s3, s3, 0x80000000
	s_cmp_lt_f32 s8, 0x7f800000
	s_fmamk_f32 s3, s2, 0x3f317217, s3
	s_delay_alu instid0(SALU_CYCLE_3) | instskip(NEXT) | instid1(SALU_CYCLE_3)
	s_fmamk_f32 s3, s2, 0x3377d1cf, s3
	s_fmamk_f32 s3, s2, 0x3f317217, s3
	s_delay_alu instid0(SALU_CYCLE_3) | instskip(NEXT) | instid1(SALU_CYCLE_1)
	s_cselect_b32 s2, s3, s2
	s_sub_f32 s2, s2, s6
	s_delay_alu instid0(SALU_CYCLE_3) | instskip(NEXT) | instid1(SALU_CYCLE_3)
	s_mul_f32 s6, s2, -2.0
	s_mul_f32 s2, s6, 0x4f800000
	s_cmp_lt_f32 s6, 0xf800000
	s_delay_alu instid0(SALU_CYCLE_2) | instskip(NEXT) | instid1(SALU_CYCLE_1)
	s_cselect_b32 s8, s2, s6
	v_s_sqrt_f32 s19, s8
	s_mov_b32 s21, s8
	s_delay_alu instid0(TRANS32_DEP_1) | instskip(NEXT) | instid1(SALU_CYCLE_1)
	s_add_co_i32 s20, s19, -1
	s_xor_b32 s2, s20, 0x80000000
	s_delay_alu instid0(SALU_CYCLE_1) | instskip(SKIP_4) | instid1(SALU_CYCLE_2)
	s_fmac_f32 s21, s2, s19
	s_load_b64 s[2:3], s[0:1], 0x4
	s_wait_xcnt 0x0
	s_cvt_f32_u32 s0, s7
	s_cmp_le_f32 s21, 0
	s_fmaak_f32 s0, s0, s11, 0x2f000000
	s_cselect_b32 s1, s20, s19
	s_add_co_i32 s7, s19, 1
	s_mov_b32 s20, s8
	s_xor_b32 s21, s7, 0x80000000
	s_mul_f32 s0, s0, 0x40c90fdb
	s_fmac_f32 s20, s21, s19
	s_delay_alu instid0(SALU_CYCLE_2) | instskip(NEXT) | instid1(SALU_CYCLE_2)
	s_mul_f32 s0, s0, 0.15915494
	s_cmp_gt_f32 s20, 0
	s_delay_alu instid0(SALU_CYCLE_2)
	v_sin_f32_e32 v3, s0
	s_cselect_b32 s1, s7, s1
	s_cmp_lt_f32 s6, 0xf800000
	s_mul_f32 s6, s1, 0x37800000
	s_mul_f32 s7, s9, 0x40c90fdb
	s_wait_kmcnt 0x0
	v_mul_u32_u24_e32 v5, s3, v1
	s_cselect_b32 s6, s6, s1
	s_lshr_b32 s1, s2, 16
	s_mul_f32 s2, s7, 0.15915494
	s_mul_i32 s1, s1, s3
	v_cmp_class_f32_e64 s3, s8, 0x260
	v_mul_lo_u32 v6, s1, v2
	v_cmp_class_f32_e64 s7, s18, 0x260
	v_cos_f32_e32 v2, s0
	s_lshl_b64 s[0:1], s[14:15], 2
	v_sin_f32_e32 v1, s2
	v_cos_f32_e32 v0, s2
	s_and_b32 s2, s3, exec_lo
	s_cselect_b32 s6, s8, s6
	s_and_b32 s2, s7, exec_lo
	s_sub_nc_u64 s[2:3], s[16:17], s[0:1]
	s_cselect_b32 s8, s18, s10
	v_cmp_lt_i64_e64 s7, s[2:3], 1
	v_add3_u32 v4, v6, v5, v4
	v_pk_mul_f32 v[2:3], v[2:3], s[8:9] op_sel_hi:[1,0]
	s_mov_b32 s8, -1
	s_delay_alu instid0(VALU_DEP_2)
	v_lshlrev_b32_e32 v5, 4, v4
	v_pk_mul_f32 v[0:1], v[0:1], s[6:7] op_sel_hi:[1,0]
	s_and_b32 vcc_lo, exec_lo, s7
	ds_store_b128 v5, v[0:3]
	s_cbranch_vccnz .LBB14_11
; %bb.4:
	s_cmp_eq_u64 s[2:3], 1
	s_mov_b64 s[6:7], 0
	s_cbranch_scc1 .LBB14_8
; %bb.5:
	s_mov_b32 s6, s13
	s_mov_b32 s7, s13
	;; [unrolled: 1-line block ×4, first 2 shown]
	v_mov_b64_e32 v[0:1], s[6:7]
	v_mov_b64_e32 v[2:3], s[10:11]
	s_and_b64 s[8:9], s[16:17], 1
	v_mov_b32_e32 v6, 0
	s_lshl_b64 s[0:1], s[0:1], 1
	s_sub_nc_u64 s[6:7], s[2:3], s[8:9]
	s_add_nc_u64 s[10:11], s[4:5], s[0:1]
	s_mov_b64 s[16:17], s[6:7]
.LBB14_6:                               ; =>This Inner Loop Header: Depth=1
	ds_load_b64 v[8:9], v5
	s_add_nc_u64 s[16:17], s[16:17], -2
	v_add_nc_u32_e32 v5, 8, v5
	s_cmp_lg_u64 s[16:17], 0
	s_wait_dscnt 0x0
	v_pk_fma_f32 v[8:9], v[0:1], v[8:9], v[2:3]
	s_delay_alu instid0(VALU_DEP_1) | instskip(SKIP_2) | instid1(VALU_DEP_3)
	v_dual_lshrrev_b32 v7, 16, v8 :: v_dual_lshrrev_b32 v10, 16, v9
	v_cmp_o_f32_e32 vcc_lo, v9, v9
	v_cmp_o_f32_e64 s0, v8, v8
	v_and_b32_e32 v10, 1, v10
	s_delay_alu instid0(VALU_DEP_1) | instskip(NEXT) | instid1(VALU_DEP_1)
	v_add3_u32 v10, v9, v10, 0x7fff
	v_dual_lshrrev_b32 v10, 16, v10 :: v_dual_bitop2_b32 v7, 1, v7 bitop3:0x40
	s_delay_alu instid0(VALU_DEP_1) | instskip(NEXT) | instid1(VALU_DEP_1)
	v_add3_u32 v7, v8, v7, 0x7fff
	v_dual_cndmask_b32 v8, 0x7fc0, v10 :: v_dual_lshrrev_b32 v7, 16, v7
	s_delay_alu instid0(VALU_DEP_1) | instskip(NEXT) | instid1(VALU_DEP_1)
	v_cndmask_b32_e64 v7, 0x7fc0, v7, s0
	v_perm_b32 v7, v8, v7, 0x5040100
	global_store_b32 v6, v7, s[10:11]
	s_wait_xcnt 0x0
	s_add_nc_u64 s[10:11], s[10:11], 4
	s_cbranch_scc1 .LBB14_6
; %bb.7:
	s_cmp_lg_u64 s[8:9], 0
	s_cselect_b32 s8, -1, 0
.LBB14_8:
	s_delay_alu instid0(SALU_CYCLE_1)
	s_and_b32 vcc_lo, exec_lo, s8
	s_cbranch_vccz .LBB14_11
; %bb.9:
	v_dual_mov_b32 v1, 0 :: v_dual_lshlrev_b32 v0, 4, v4
	s_lshl_b64 s[0:1], s[14:15], 3
	s_lshl_b64 s[8:9], s[6:7], 1
	s_delay_alu instid0(SALU_CYCLE_1) | instskip(NEXT) | instid1(VALU_DEP_1)
	s_add_nc_u64 s[0:1], s[0:1], s[8:9]
	v_lshl_add_u32 v0, s6, 2, v0
	s_add_nc_u64 s[0:1], s[4:5], s[0:1]
.LBB14_10:                              ; =>This Inner Loop Header: Depth=1
	ds_load_b32 v2, v0
	s_add_nc_u64 s[6:7], s[6:7], 1
	s_delay_alu instid0(SALU_CYCLE_1) | instskip(SKIP_2) | instid1(VALU_DEP_1)
	v_cmp_gt_i64_e64 s4, s[2:3], s[6:7]
	s_wait_dscnt 0x0
	v_fma_f32 v2, s13, v2, s12
	v_bfe_u32 v3, v2, 16, 1
	v_cmp_o_f32_e32 vcc_lo, v2, v2
	s_delay_alu instid0(VALU_DEP_2) | instskip(NEXT) | instid1(VALU_DEP_1)
	v_add3_u32 v3, v2, v3, 0x7fff
	v_dual_add_nc_u32 v0, 4, v0 :: v_dual_lshrrev_b32 v3, 16, v3
	s_delay_alu instid0(VALU_DEP_1)
	v_cndmask_b32_e32 v2, 0x7fc0, v3, vcc_lo
	s_and_b32 vcc_lo, exec_lo, s4
	global_store_b16 v1, v2, s[0:1]
	s_wait_xcnt 0x0
	s_add_nc_u64 s[0:1], s[0:1], 2
	s_cbranch_vccnz .LBB14_10
.LBB14_11:
	s_endpgm
	.section	.rodata,"a",@progbits
	.p2align	6, 0x0
	.amdhsa_kernel _ZN2at6native12_GLOBAL__N_124philox_single_key_kernelIN3c108BFloat16EZZZZNS0_20_philox_normal_cuda_ERNS_6TensorERKS5_ddENKUlvE_clEvENKUlvE2_clEvENKUlvE_clEvEUlmmE0_ZZZNS0_20_philox_normal_cuda_ES6_S8_ddENKS9_clEvENKSA_clEvEUlfE_EEvPT_PKmlT0_T1_
		.amdhsa_group_segment_fixed_size 16384
		.amdhsa_private_segment_fixed_size 0
		.amdhsa_kernarg_size 296
		.amdhsa_user_sgpr_count 4
		.amdhsa_user_sgpr_dispatch_ptr 1
		.amdhsa_user_sgpr_queue_ptr 0
		.amdhsa_user_sgpr_kernarg_segment_ptr 1
		.amdhsa_user_sgpr_dispatch_id 0
		.amdhsa_user_sgpr_kernarg_preload_length 0
		.amdhsa_user_sgpr_kernarg_preload_offset 0
		.amdhsa_user_sgpr_private_segment_size 0
		.amdhsa_wavefront_size32 1
		.amdhsa_uses_dynamic_stack 0
		.amdhsa_enable_private_segment 0
		.amdhsa_system_sgpr_workgroup_id_x 1
		.amdhsa_system_sgpr_workgroup_id_y 0
		.amdhsa_system_sgpr_workgroup_id_z 0
		.amdhsa_system_sgpr_workgroup_info 0
		.amdhsa_system_vgpr_workitem_id 2
		.amdhsa_next_free_vgpr 16
		.amdhsa_next_free_sgpr 24
		.amdhsa_named_barrier_count 0
		.amdhsa_reserve_vcc 1
		.amdhsa_float_round_mode_32 0
		.amdhsa_float_round_mode_16_64 0
		.amdhsa_float_denorm_mode_32 3
		.amdhsa_float_denorm_mode_16_64 3
		.amdhsa_fp16_overflow 0
		.amdhsa_memory_ordered 1
		.amdhsa_forward_progress 1
		.amdhsa_inst_pref_size 30
		.amdhsa_round_robin_scheduling 0
		.amdhsa_exception_fp_ieee_invalid_op 0
		.amdhsa_exception_fp_denorm_src 0
		.amdhsa_exception_fp_ieee_div_zero 0
		.amdhsa_exception_fp_ieee_overflow 0
		.amdhsa_exception_fp_ieee_underflow 0
		.amdhsa_exception_fp_ieee_inexact 0
		.amdhsa_exception_int_div_zero 0
	.end_amdhsa_kernel
	.section	.text._ZN2at6native12_GLOBAL__N_124philox_single_key_kernelIN3c108BFloat16EZZZZNS0_20_philox_normal_cuda_ERNS_6TensorERKS5_ddENKUlvE_clEvENKUlvE2_clEvENKUlvE_clEvEUlmmE0_ZZZNS0_20_philox_normal_cuda_ES6_S8_ddENKS9_clEvENKSA_clEvEUlfE_EEvPT_PKmlT0_T1_,"axG",@progbits,_ZN2at6native12_GLOBAL__N_124philox_single_key_kernelIN3c108BFloat16EZZZZNS0_20_philox_normal_cuda_ERNS_6TensorERKS5_ddENKUlvE_clEvENKUlvE2_clEvENKUlvE_clEvEUlmmE0_ZZZNS0_20_philox_normal_cuda_ES6_S8_ddENKS9_clEvENKSA_clEvEUlfE_EEvPT_PKmlT0_T1_,comdat
.Lfunc_end14:
	.size	_ZN2at6native12_GLOBAL__N_124philox_single_key_kernelIN3c108BFloat16EZZZZNS0_20_philox_normal_cuda_ERNS_6TensorERKS5_ddENKUlvE_clEvENKUlvE2_clEvENKUlvE_clEvEUlmmE0_ZZZNS0_20_philox_normal_cuda_ES6_S8_ddENKS9_clEvENKSA_clEvEUlfE_EEvPT_PKmlT0_T1_, .Lfunc_end14-_ZN2at6native12_GLOBAL__N_124philox_single_key_kernelIN3c108BFloat16EZZZZNS0_20_philox_normal_cuda_ERNS_6TensorERKS5_ddENKUlvE_clEvENKUlvE2_clEvENKUlvE_clEvEUlmmE0_ZZZNS0_20_philox_normal_cuda_ES6_S8_ddENKS9_clEvENKSA_clEvEUlfE_EEvPT_PKmlT0_T1_
                                        ; -- End function
	.set _ZN2at6native12_GLOBAL__N_124philox_single_key_kernelIN3c108BFloat16EZZZZNS0_20_philox_normal_cuda_ERNS_6TensorERKS5_ddENKUlvE_clEvENKUlvE2_clEvENKUlvE_clEvEUlmmE0_ZZZNS0_20_philox_normal_cuda_ES6_S8_ddENKS9_clEvENKSA_clEvEUlfE_EEvPT_PKmlT0_T1_.num_vgpr, 16
	.set _ZN2at6native12_GLOBAL__N_124philox_single_key_kernelIN3c108BFloat16EZZZZNS0_20_philox_normal_cuda_ERNS_6TensorERKS5_ddENKUlvE_clEvENKUlvE2_clEvENKUlvE_clEvEUlmmE0_ZZZNS0_20_philox_normal_cuda_ES6_S8_ddENKS9_clEvENKSA_clEvEUlfE_EEvPT_PKmlT0_T1_.num_agpr, 0
	.set _ZN2at6native12_GLOBAL__N_124philox_single_key_kernelIN3c108BFloat16EZZZZNS0_20_philox_normal_cuda_ERNS_6TensorERKS5_ddENKUlvE_clEvENKUlvE2_clEvENKUlvE_clEvEUlmmE0_ZZZNS0_20_philox_normal_cuda_ES6_S8_ddENKS9_clEvENKSA_clEvEUlfE_EEvPT_PKmlT0_T1_.numbered_sgpr, 24
	.set _ZN2at6native12_GLOBAL__N_124philox_single_key_kernelIN3c108BFloat16EZZZZNS0_20_philox_normal_cuda_ERNS_6TensorERKS5_ddENKUlvE_clEvENKUlvE2_clEvENKUlvE_clEvEUlmmE0_ZZZNS0_20_philox_normal_cuda_ES6_S8_ddENKS9_clEvENKSA_clEvEUlfE_EEvPT_PKmlT0_T1_.num_named_barrier, 0
	.set _ZN2at6native12_GLOBAL__N_124philox_single_key_kernelIN3c108BFloat16EZZZZNS0_20_philox_normal_cuda_ERNS_6TensorERKS5_ddENKUlvE_clEvENKUlvE2_clEvENKUlvE_clEvEUlmmE0_ZZZNS0_20_philox_normal_cuda_ES6_S8_ddENKS9_clEvENKSA_clEvEUlfE_EEvPT_PKmlT0_T1_.private_seg_size, 0
	.set _ZN2at6native12_GLOBAL__N_124philox_single_key_kernelIN3c108BFloat16EZZZZNS0_20_philox_normal_cuda_ERNS_6TensorERKS5_ddENKUlvE_clEvENKUlvE2_clEvENKUlvE_clEvEUlmmE0_ZZZNS0_20_philox_normal_cuda_ES6_S8_ddENKS9_clEvENKSA_clEvEUlfE_EEvPT_PKmlT0_T1_.uses_vcc, 1
	.set _ZN2at6native12_GLOBAL__N_124philox_single_key_kernelIN3c108BFloat16EZZZZNS0_20_philox_normal_cuda_ERNS_6TensorERKS5_ddENKUlvE_clEvENKUlvE2_clEvENKUlvE_clEvEUlmmE0_ZZZNS0_20_philox_normal_cuda_ES6_S8_ddENKS9_clEvENKSA_clEvEUlfE_EEvPT_PKmlT0_T1_.uses_flat_scratch, 0
	.set _ZN2at6native12_GLOBAL__N_124philox_single_key_kernelIN3c108BFloat16EZZZZNS0_20_philox_normal_cuda_ERNS_6TensorERKS5_ddENKUlvE_clEvENKUlvE2_clEvENKUlvE_clEvEUlmmE0_ZZZNS0_20_philox_normal_cuda_ES6_S8_ddENKS9_clEvENKSA_clEvEUlfE_EEvPT_PKmlT0_T1_.has_dyn_sized_stack, 0
	.set _ZN2at6native12_GLOBAL__N_124philox_single_key_kernelIN3c108BFloat16EZZZZNS0_20_philox_normal_cuda_ERNS_6TensorERKS5_ddENKUlvE_clEvENKUlvE2_clEvENKUlvE_clEvEUlmmE0_ZZZNS0_20_philox_normal_cuda_ES6_S8_ddENKS9_clEvENKSA_clEvEUlfE_EEvPT_PKmlT0_T1_.has_recursion, 0
	.set _ZN2at6native12_GLOBAL__N_124philox_single_key_kernelIN3c108BFloat16EZZZZNS0_20_philox_normal_cuda_ERNS_6TensorERKS5_ddENKUlvE_clEvENKUlvE2_clEvENKUlvE_clEvEUlmmE0_ZZZNS0_20_philox_normal_cuda_ES6_S8_ddENKS9_clEvENKSA_clEvEUlfE_EEvPT_PKmlT0_T1_.has_indirect_call, 0
	.section	.AMDGPU.csdata,"",@progbits
; Kernel info:
; codeLenInByte = 3744
; TotalNumSgprs: 26
; NumVgprs: 16
; ScratchSize: 0
; MemoryBound: 0
; FloatMode: 240
; IeeeMode: 1
; LDSByteSize: 16384 bytes/workgroup (compile time only)
; SGPRBlocks: 0
; VGPRBlocks: 0
; NumSGPRsForWavesPerEU: 26
; NumVGPRsForWavesPerEU: 16
; NamedBarCnt: 0
; Occupancy: 16
; WaveLimiterHint : 0
; COMPUTE_PGM_RSRC2:SCRATCH_EN: 0
; COMPUTE_PGM_RSRC2:USER_SGPR: 4
; COMPUTE_PGM_RSRC2:TRAP_HANDLER: 0
; COMPUTE_PGM_RSRC2:TGID_X_EN: 1
; COMPUTE_PGM_RSRC2:TGID_Y_EN: 0
; COMPUTE_PGM_RSRC2:TGID_Z_EN: 0
; COMPUTE_PGM_RSRC2:TIDIG_COMP_CNT: 2
	.section	.text._ZN2at6native12_GLOBAL__N_123philox_multi_key_kernelIN3c108BFloat16EZZZZNS0_20_philox_normal_cuda_ERNS_6TensorERKS5_ddENKUlvE_clEvENKUlvE2_clEvENKUlvE_clEvEUlmmE0_ZZZNS0_20_philox_normal_cuda_ES6_S8_ddENKS9_clEvENKSA_clEvEUlfE_EEvPT_PKmllT0_T1_16OffsetCalculatorILi1EjLb0EE,"axG",@progbits,_ZN2at6native12_GLOBAL__N_123philox_multi_key_kernelIN3c108BFloat16EZZZZNS0_20_philox_normal_cuda_ERNS_6TensorERKS5_ddENKUlvE_clEvENKUlvE2_clEvENKUlvE_clEvEUlmmE0_ZZZNS0_20_philox_normal_cuda_ES6_S8_ddENKS9_clEvENKSA_clEvEUlfE_EEvPT_PKmllT0_T1_16OffsetCalculatorILi1EjLb0EE,comdat
	.globl	_ZN2at6native12_GLOBAL__N_123philox_multi_key_kernelIN3c108BFloat16EZZZZNS0_20_philox_normal_cuda_ERNS_6TensorERKS5_ddENKUlvE_clEvENKUlvE2_clEvENKUlvE_clEvEUlmmE0_ZZZNS0_20_philox_normal_cuda_ES6_S8_ddENKS9_clEvENKSA_clEvEUlfE_EEvPT_PKmllT0_T1_16OffsetCalculatorILi1EjLb0EE ; -- Begin function _ZN2at6native12_GLOBAL__N_123philox_multi_key_kernelIN3c108BFloat16EZZZZNS0_20_philox_normal_cuda_ERNS_6TensorERKS5_ddENKUlvE_clEvENKUlvE2_clEvENKUlvE_clEvEUlmmE0_ZZZNS0_20_philox_normal_cuda_ES6_S8_ddENKS9_clEvENKSA_clEvEUlfE_EEvPT_PKmllT0_T1_16OffsetCalculatorILi1EjLb0EE
	.p2align	8
	.type	_ZN2at6native12_GLOBAL__N_123philox_multi_key_kernelIN3c108BFloat16EZZZZNS0_20_philox_normal_cuda_ERNS_6TensorERKS5_ddENKUlvE_clEvENKUlvE2_clEvENKUlvE_clEvEUlmmE0_ZZZNS0_20_philox_normal_cuda_ES6_S8_ddENKS9_clEvENKSA_clEvEUlfE_EEvPT_PKmllT0_T1_16OffsetCalculatorILi1EjLb0EE,@function
_ZN2at6native12_GLOBAL__N_123philox_multi_key_kernelIN3c108BFloat16EZZZZNS0_20_philox_normal_cuda_ERNS_6TensorERKS5_ddENKUlvE_clEvENKUlvE2_clEvENKUlvE_clEvEUlmmE0_ZZZNS0_20_philox_normal_cuda_ES6_S8_ddENKS9_clEvENKSA_clEvEUlfE_EEvPT_PKmllT0_T1_16OffsetCalculatorILi1EjLb0EE: ; @_ZN2at6native12_GLOBAL__N_123philox_multi_key_kernelIN3c108BFloat16EZZZZNS0_20_philox_normal_cuda_ERNS_6TensorERKS5_ddENKUlvE_clEvENKUlvE2_clEvENKUlvE_clEvEUlmmE0_ZZZNS0_20_philox_normal_cuda_ES6_S8_ddENKS9_clEvENKSA_clEvEUlfE_EEvPT_PKmllT0_T1_16OffsetCalculatorILi1EjLb0EE
; %bb.0:
	s_clause 0x1
	s_load_b128 s[4:7], s[0:1], 0x10
	s_load_b32 s10, s[0:1], 0x13c
	s_bfe_u32 s2, ttmp6, 0x4000c
	v_mov_b32_e32 v4, 0
	s_add_co_i32 s2, s2, 1
	s_mov_b32 s3, 0
	s_mul_i32 s15, ttmp9, s2
	s_and_b32 s11, ttmp6, 15
	s_getreg_b32 s14, hwreg(HW_REG_IB_STS2, 6, 4)
	v_mov_b32_e32 v1, v4
	s_add_co_i32 s11, s11, s15
	s_wait_kmcnt 0x0
	s_add_nc_u64 s[8:9], s[6:7], 3
	s_delay_alu instid0(SALU_CYCLE_1) | instskip(NEXT) | instid1(SALU_CYCLE_1)
	s_ashr_i32 s12, s9, 31
	s_lshr_b32 s2, s12, 30
	s_delay_alu instid0(SALU_CYCLE_1) | instskip(SKIP_4) | instid1(SALU_CYCLE_1)
	s_add_nc_u64 s[2:3], s[8:9], s[2:3]
	s_and_b32 s8, s10, 0xffff
	s_ashr_i64 s[12:13], s[2:3], 2
	s_cmp_eq_u32 s14, 0
	s_cselect_b32 s2, ttmp9, s11
	v_mad_nc_u64_u32 v[2:3], s8, s2, v[0:1]
	s_mul_u64 s[2:3], s[12:13], s[4:5]
	s_delay_alu instid0(VALU_DEP_1) | instid1(SALU_CYCLE_1)
	v_cmp_gt_i64_e32 vcc_lo, s[2:3], v[2:3]
	s_and_saveexec_b32 s2, vcc_lo
	s_cbranch_execz .LBB15_27
; %bb.1:
	v_or_b32_e32 v5, s13, v3
                                        ; implicit-def: $vgpr0_vgpr1
	s_mov_b32 s2, exec_lo
	s_delay_alu instid0(VALU_DEP_1)
	v_cmpx_ne_u64_e32 0, v[4:5]
	s_xor_b32 s3, exec_lo, s2
	s_cbranch_execz .LBB15_3
; %bb.2:
	s_ashr_i32 s4, s13, 31
	s_mov_b32 s19, 0
	s_mov_b32 s5, s4
	v_dual_mov_b32 v7, 0 :: v_dual_ashrrev_i32 v0, 31, v3
	s_add_nc_u64 s[8:9], s[12:13], s[4:5]
	s_delay_alu instid0(SALU_CYCLE_1) | instskip(NEXT) | instid1(VALU_DEP_1)
	s_xor_b64 s[8:9], s[8:9], s[4:5]
	v_dual_mov_b32 v1, v0 :: v_dual_mov_b32 v9, v7
	s_cvt_f32_u32 s2, s8
	s_cvt_f32_u32 s5, s9
	s_sub_nc_u64 s[14:15], 0, s[8:9]
	s_delay_alu instid0(VALU_DEP_1) | instskip(SKIP_2) | instid1(SALU_CYCLE_3)
	v_add_nc_u64_e32 v[4:5], v[2:3], v[0:1]
	v_mov_b32_e32 v15, v7
	s_fmamk_f32 s2, s5, 0x4f800000, s2
	v_s_rcp_f32 s2, s2
	s_delay_alu instid0(VALU_DEP_2) | instskip(NEXT) | instid1(VALU_DEP_3)
	v_xor_b32_e32 v6, v4, v0
	v_xor_b32_e32 v8, v5, v0
	;; [unrolled: 1-line block ×3, first 2 shown]
	s_delay_alu instid0(TRANS32_DEP_1) | instskip(NEXT) | instid1(SALU_CYCLE_3)
	s_mul_f32 s2, s2, 0x5f7ffffc
	s_mul_f32 s5, s2, 0x2f800000
	s_delay_alu instid0(SALU_CYCLE_3) | instskip(NEXT) | instid1(SALU_CYCLE_3)
	s_trunc_f32 s5, s5
	s_fmamk_f32 s2, s5, 0xcf800000, s2
	s_cvt_u32_f32 s11, s5
	s_delay_alu instid0(SALU_CYCLE_2) | instskip(NEXT) | instid1(SALU_CYCLE_3)
	s_cvt_u32_f32 s10, s2
	s_mul_u64 s[16:17], s[14:15], s[10:11]
	s_delay_alu instid0(SALU_CYCLE_1)
	s_mul_hi_u32 s21, s10, s17
	s_mul_i32 s20, s10, s17
	s_mul_hi_u32 s18, s10, s16
	s_mul_i32 s5, s11, s16
	s_add_nc_u64 s[20:21], s[18:19], s[20:21]
	s_mul_hi_u32 s2, s11, s16
	s_mul_hi_u32 s22, s11, s17
	s_add_co_u32 s5, s20, s5
	s_add_co_ci_u32 s18, s21, s2
	s_mul_i32 s16, s11, s17
	s_add_co_ci_u32 s17, s22, 0
	s_delay_alu instid0(SALU_CYCLE_1) | instskip(NEXT) | instid1(SALU_CYCLE_1)
	s_add_nc_u64 s[16:17], s[18:19], s[16:17]
	s_add_co_u32 s10, s10, s16
	s_cselect_b32 s2, -1, 0
	s_delay_alu instid0(SALU_CYCLE_1) | instskip(SKIP_1) | instid1(SALU_CYCLE_1)
	s_cmp_lg_u32 s2, 0
	s_add_co_ci_u32 s11, s11, s17
	s_mul_u64 s[14:15], s[14:15], s[10:11]
	s_delay_alu instid0(SALU_CYCLE_1)
	s_mul_hi_u32 s17, s10, s15
	s_mul_i32 s16, s10, s15
	s_mul_hi_u32 s18, s10, s14
	s_mul_i32 s5, s11, s14
	s_add_nc_u64 s[16:17], s[18:19], s[16:17]
	s_mul_hi_u32 s2, s11, s14
	s_mul_hi_u32 s20, s11, s15
	s_add_co_u32 s5, s16, s5
	s_add_co_ci_u32 s18, s17, s2
	s_mul_i32 s14, s11, s15
	s_add_co_ci_u32 s15, s20, 0
	s_delay_alu instid0(SALU_CYCLE_1) | instskip(NEXT) | instid1(SALU_CYCLE_1)
	s_add_nc_u64 s[14:15], s[18:19], s[14:15]
	s_add_co_u32 s2, s10, s14
	s_cselect_b32 s5, -1, 0
	v_mul_hi_u32 v14, v6, s2
	s_cmp_lg_u32 s5, 0
	s_add_co_ci_u32 s18, s11, s15
	s_mov_b64 s[10:11], 0xffffffff
	v_mul_u64_e32 v[10:11], s[18:19], v[6:7]
	s_and_b64 s[10:11], s[2:3], s[10:11]
	v_mul_u64_e32 v[12:13], s[18:19], v[8:9]
	v_mul_u64_e32 v[4:5], s[10:11], v[8:9]
	s_delay_alu instid0(VALU_DEP_3) | instskip(NEXT) | instid1(VALU_DEP_1)
	v_add_nc_u64_e32 v[10:11], v[14:15], v[10:11]
	v_add_co_u32 v1, vcc_lo, v10, v4
	s_delay_alu instid0(VALU_DEP_2) | instskip(SKIP_1) | instid1(VALU_DEP_1)
	v_add_co_ci_u32_e32 v14, vcc_lo, v11, v5, vcc_lo
	v_add_co_ci_u32_e32 v13, vcc_lo, 0, v13, vcc_lo
	v_add_nc_u64_e32 v[4:5], v[14:15], v[12:13]
	s_delay_alu instid0(VALU_DEP_1) | instskip(NEXT) | instid1(VALU_DEP_1)
	v_mul_u64_e32 v[10:11], s[8:9], v[4:5]
	v_sub_nc_u32_e32 v1, v8, v11
	s_delay_alu instid0(VALU_DEP_2) | instskip(NEXT) | instid1(VALU_DEP_1)
	v_sub_co_u32 v6, vcc_lo, v6, v10
	v_sub_co_ci_u32_e64 v10, null, v8, v11, vcc_lo
	s_delay_alu instid0(VALU_DEP_3) | instskip(NEXT) | instid1(VALU_DEP_3)
	v_subrev_co_ci_u32_e64 v1, null, s9, v1, vcc_lo
	v_sub_co_u32 v7, s2, v6, s8
	s_delay_alu instid0(VALU_DEP_1) | instskip(NEXT) | instid1(VALU_DEP_2)
	v_subrev_co_ci_u32_e64 v1, null, 0, v1, s2
	v_cmp_le_u32_e32 vcc_lo, s8, v7
	v_cndmask_b32_e64 v7, 0, -1, vcc_lo
	s_delay_alu instid0(VALU_DEP_3)
	v_cmp_le_u32_e32 vcc_lo, s9, v1
	v_cndmask_b32_e64 v8, 0, -1, vcc_lo
	v_cmp_le_u32_e32 vcc_lo, s8, v6
	v_cndmask_b32_e64 v11, 0, -1, vcc_lo
	;; [unrolled: 2-line block ×3, first 2 shown]
	v_cmp_eq_u32_e32 vcc_lo, s9, v1
	v_cndmask_b32_e32 v1, v8, v7, vcc_lo
	v_cmp_eq_u32_e32 vcc_lo, s9, v10
	v_add_nc_u64_e32 v[6:7], 2, v[4:5]
	v_add_nc_u64_e32 v[8:9], 1, v[4:5]
	v_cndmask_b32_e32 v10, v12, v11, vcc_lo
	v_cmp_ne_u32_e32 vcc_lo, 0, v1
	s_delay_alu instid0(VALU_DEP_2) | instskip(NEXT) | instid1(VALU_DEP_4)
	v_cmp_ne_u32_e64 s2, 0, v10
	v_dual_cndmask_b32 v6, v8, v6 :: v_dual_cndmask_b32 v1, v9, v7
	s_delay_alu instid0(VALU_DEP_1) | instskip(SKIP_1) | instid1(VALU_DEP_2)
	v_dual_cndmask_b32 v4, v4, v6, s2 :: v_dual_cndmask_b32 v5, v5, v1, s2
	v_mov_b32_e32 v1, v0
	v_xor_b32_e32 v4, v4, v0
	s_delay_alu instid0(VALU_DEP_3) | instskip(NEXT) | instid1(VALU_DEP_1)
	v_xor_b32_e32 v5, v5, v0
	v_sub_nc_u64_e32 v[0:1], v[4:5], v[0:1]
.LBB15_3:
	s_and_not1_saveexec_b32 s2, s3
	s_cbranch_execz .LBB15_5
; %bb.4:
	v_cvt_f32_u32_e32 v0, s12
	s_sub_co_i32 s3, 0, s12
	s_delay_alu instid0(VALU_DEP_1) | instskip(SKIP_1) | instid1(TRANS32_DEP_1)
	v_rcp_iflag_f32_e32 v0, v0
	v_nop
	v_mul_f32_e32 v0, 0x4f7ffffe, v0
	s_delay_alu instid0(VALU_DEP_1) | instskip(NEXT) | instid1(VALU_DEP_1)
	v_cvt_u32_f32_e32 v0, v0
	v_mul_lo_u32 v1, s3, v0
	s_delay_alu instid0(VALU_DEP_1) | instskip(NEXT) | instid1(VALU_DEP_1)
	v_mul_hi_u32 v1, v0, v1
	v_add_nc_u32_e32 v0, v0, v1
	s_delay_alu instid0(VALU_DEP_1) | instskip(NEXT) | instid1(VALU_DEP_1)
	v_mul_hi_u32 v0, v2, v0
	v_mul_lo_u32 v1, v0, s12
	s_delay_alu instid0(VALU_DEP_1) | instskip(NEXT) | instid1(VALU_DEP_1)
	v_sub_nc_u32_e32 v1, v2, v1
	v_subrev_nc_u32_e32 v5, s12, v1
	v_cmp_le_u32_e32 vcc_lo, s12, v1
	s_delay_alu instid0(VALU_DEP_2) | instskip(NEXT) | instid1(VALU_DEP_1)
	v_dual_cndmask_b32 v1, v1, v5 :: v_dual_add_nc_u32 v4, 1, v0
	v_cndmask_b32_e32 v0, v0, v4, vcc_lo
	s_delay_alu instid0(VALU_DEP_2) | instskip(NEXT) | instid1(VALU_DEP_2)
	v_cmp_le_u32_e32 vcc_lo, s12, v1
	v_dual_mov_b32 v1, 0 :: v_dual_add_nc_u32 v4, 1, v0
	s_delay_alu instid0(VALU_DEP_1)
	v_cndmask_b32_e32 v0, v0, v4, vcc_lo
.LBB15_5:
	s_or_b32 exec_lo, exec_lo, s2
	s_clause 0x1
	s_load_b96 s[8:10], s[0:1], 0x24
	s_load_b64 s[2:3], s[0:1], 0x8
	s_add_nc_u64 s[4:5], s[0:1], 44
	s_mov_b32 s11, -1
                                        ; implicit-def: $vgpr6
	s_wait_kmcnt 0x0
	s_add_co_i32 s14, s10, -1
	s_delay_alu instid0(SALU_CYCLE_1)
	s_cmp_lt_u32 s14, 2
	s_cbranch_scc1 .LBB15_15
; %bb.6:
	s_cmp_lg_u32 s10, 0
	s_mov_b32 s11, 0
	s_cbranch_scc0 .LBB15_11
; %bb.7:
	s_min_u32 s15, s14, 15
	s_delay_alu instid0(SALU_CYCLE_1)
	s_add_co_i32 s15, s15, 1
	s_cmp_eq_u32 s14, 2
	s_cbranch_scc1 .LBB15_12
; %bb.8:
	v_dual_mov_b32 v6, 0 :: v_dual_mov_b32 v4, v0
	s_and_b32 s14, s15, 28
	s_add_nc_u64 s[16:17], s[4:5], 0xc4
	s_mov_b32 s20, 0
	s_mov_b64 s[18:19], s[4:5]
.LBB15_9:                               ; =>This Inner Loop Header: Depth=1
	s_clause 0x1
	s_load_b256 s[24:31], s[18:19], 0x4
	s_load_b128 s[36:39], s[18:19], 0x24
	s_load_b128 s[40:43], s[16:17], 0x0
	s_add_co_i32 s20, s20, 4
	s_wait_xcnt 0x0
	s_add_nc_u64 s[18:19], s[18:19], 48
	s_cmp_lg_u32 s14, s20
	s_add_nc_u64 s[16:17], s[16:17], 16
	s_wait_kmcnt 0x0
	v_mul_hi_u32 v5, s25, v4
	s_delay_alu instid0(VALU_DEP_1) | instskip(NEXT) | instid1(VALU_DEP_1)
	v_add_nc_u32_e32 v5, v4, v5
	v_lshrrev_b32_e32 v5, s26, v5
	s_delay_alu instid0(VALU_DEP_1) | instskip(NEXT) | instid1(VALU_DEP_1)
	v_mul_hi_u32 v7, s28, v5
	v_add_nc_u32_e32 v7, v5, v7
	s_delay_alu instid0(VALU_DEP_1) | instskip(NEXT) | instid1(VALU_DEP_1)
	v_lshrrev_b32_e32 v7, s29, v7
	v_mul_hi_u32 v8, s31, v7
	s_delay_alu instid0(VALU_DEP_1) | instskip(SKIP_1) | instid1(VALU_DEP_2)
	v_add_nc_u32_e32 v8, v7, v8
	v_mul_lo_u32 v9, v5, s24
	v_lshrrev_b32_e32 v8, s36, v8
	s_delay_alu instid0(VALU_DEP_1) | instskip(NEXT) | instid1(VALU_DEP_3)
	v_mul_hi_u32 v10, s38, v8
	v_sub_nc_u32_e32 v4, v4, v9
	v_mul_lo_u32 v9, v7, s27
	s_delay_alu instid0(VALU_DEP_1) | instskip(NEXT) | instid1(VALU_DEP_3)
	v_sub_nc_u32_e32 v5, v5, v9
	v_mad_u32 v4, v4, s40, v6
	v_mul_lo_u32 v6, v8, s30
	v_add_nc_u32_e32 v9, v8, v10
	s_delay_alu instid0(VALU_DEP_3) | instskip(NEXT) | instid1(VALU_DEP_2)
	v_mad_u32 v5, v5, s41, v4
	v_dual_lshrrev_b32 v4, s39, v9 :: v_dual_sub_nc_u32 v6, v7, v6
	s_delay_alu instid0(VALU_DEP_1) | instskip(NEXT) | instid1(VALU_DEP_2)
	v_mul_lo_u32 v7, v4, s37
	v_mad_u32 v5, v6, s42, v5
	s_delay_alu instid0(VALU_DEP_2) | instskip(NEXT) | instid1(VALU_DEP_1)
	v_sub_nc_u32_e32 v6, v8, v7
	v_mad_u32 v6, v6, s43, v5
	s_cbranch_scc1 .LBB15_9
; %bb.10:
	s_and_b32 s18, s15, 3
	s_mov_b32 s15, 0
	s_cmp_eq_u32 s18, 0
	s_cbranch_scc0 .LBB15_13
	s_branch .LBB15_15
.LBB15_11:
	v_mov_b32_e32 v6, 0
	s_branch .LBB15_15
.LBB15_12:
	v_dual_mov_b32 v6, 0 :: v_dual_mov_b32 v4, v0
	s_mov_b32 s14, 0
	s_and_b32 s18, s15, 3
	s_mov_b32 s15, 0
	s_cmp_eq_u32 s18, 0
	s_cbranch_scc1 .LBB15_15
.LBB15_13:
	s_lshl_b32 s16, s14, 2
	s_mov_b32 s17, s15
	s_mul_u64 s[20:21], s[14:15], 12
	s_add_nc_u64 s[16:17], s[4:5], s[16:17]
	s_delay_alu instid0(SALU_CYCLE_1)
	s_add_nc_u64 s[14:15], s[16:17], 0xc4
	s_add_nc_u64 s[16:17], s[4:5], s[20:21]
.LBB15_14:                              ; =>This Inner Loop Header: Depth=1
	s_load_b96 s[20:22], s[16:17], 0x4
	s_load_b32 s19, s[14:15], 0x0
	s_add_co_i32 s18, s18, -1
	s_wait_xcnt 0x0
	s_add_nc_u64 s[16:17], s[16:17], 12
	s_cmp_lg_u32 s18, 0
	s_add_nc_u64 s[14:15], s[14:15], 4
	s_wait_kmcnt 0x0
	v_mul_hi_u32 v5, s21, v4
	s_delay_alu instid0(VALU_DEP_1) | instskip(NEXT) | instid1(VALU_DEP_1)
	v_add_nc_u32_e32 v5, v4, v5
	v_lshrrev_b32_e32 v5, s22, v5
	s_delay_alu instid0(VALU_DEP_1) | instskip(NEXT) | instid1(VALU_DEP_1)
	v_mul_lo_u32 v7, v5, s20
	v_sub_nc_u32_e32 v4, v4, v7
	s_delay_alu instid0(VALU_DEP_1)
	v_mad_u32 v6, v4, s19, v6
	v_mov_b32_e32 v4, v5
	s_cbranch_scc1 .LBB15_14
.LBB15_15:
	s_and_not1_b32 vcc_lo, exec_lo, s11
	s_cbranch_vccnz .LBB15_18
; %bb.16:
	s_clause 0x1
	s_load_b96 s[16:18], s[4:5], 0x4
	s_load_b32 s11, s[4:5], 0xc4
	v_dual_mov_b32 v5, 0 :: v_dual_mov_b32 v4, v0
	s_mov_b32 s15, 0
	s_cmp_lt_u32 s10, 2
	s_wait_kmcnt 0x0
	s_mov_b32 s14, s17
	s_delay_alu instid0(SALU_CYCLE_1) | instskip(NEXT) | instid1(VALU_DEP_1)
	v_mul_u64_e32 v[4:5], s[14:15], v[4:5]
	v_add_nc_u32_e32 v4, v5, v0
	s_delay_alu instid0(VALU_DEP_1) | instskip(NEXT) | instid1(VALU_DEP_1)
	v_lshrrev_b32_e32 v4, s18, v4
	v_mul_lo_u32 v5, v4, s16
	s_delay_alu instid0(VALU_DEP_1) | instskip(NEXT) | instid1(VALU_DEP_1)
	v_sub_nc_u32_e32 v5, v0, v5
	v_mul_lo_u32 v6, v5, s11
	s_cbranch_scc1 .LBB15_18
; %bb.17:
	s_clause 0x1
	s_load_b96 s[16:18], s[4:5], 0x10
	s_load_b32 s10, s[4:5], 0xc8
	s_wait_kmcnt 0x0
	v_mul_hi_u32 v5, s17, v4
	s_delay_alu instid0(VALU_DEP_1) | instskip(NEXT) | instid1(VALU_DEP_1)
	v_add_nc_u32_e32 v5, v4, v5
	v_lshrrev_b32_e32 v5, s18, v5
	s_delay_alu instid0(VALU_DEP_1) | instskip(NEXT) | instid1(VALU_DEP_1)
	v_mul_lo_u32 v5, v5, s16
	v_sub_nc_u32_e32 v4, v4, v5
	s_delay_alu instid0(VALU_DEP_1)
	v_mad_u32 v6, v4, s10, v6
.LBB15_18:
	s_delay_alu instid0(VALU_DEP_1)
	v_add_nc_u32_e32 v7, 1, v6
	s_mov_b64 s[4:5], 0xcd9e8d57
	s_clause 0x1
	global_load_b64 v[8:9], v7, s[2:3] scale_offset
	global_load_b64 v[4:5], v6, s[2:3] scale_offset
	s_wait_xcnt 0x0
	v_mul_u64_e32 v[6:7], s[12:13], v[0:1]
	s_mov_b64 s[2:3], 0xd2511f53
	s_delay_alu instid0(VALU_DEP_1) | instskip(SKIP_1) | instid1(VALU_DEP_1)
	v_sub_nc_u64_e32 v[2:3], v[2:3], v[6:7]
	s_wait_loadcnt 0x1
	v_add_nc_u64_e32 v[6:7], v[8:9], v[2:3]
	v_mov_b32_e32 v9, 0
	s_delay_alu instid0(VALU_DEP_1) | instskip(SKIP_1) | instid1(VALU_DEP_3)
	v_dual_mov_b32 v13, v9 :: v_dual_mov_b32 v8, v6
	s_wait_loadcnt 0x0
	v_xor_b32_e32 v12, v7, v4
	v_mul_lo_u32 v6, 0xd2511f53, v6
	v_add_nc_u32_e32 v7, 0x9e3779b9, v4
	v_mul_u64_e32 v[10:11], s[2:3], v[8:9]
	s_delay_alu instid0(VALU_DEP_4) | instskip(SKIP_2) | instid1(VALU_DEP_3)
	v_mul_u64_e32 v[14:15], s[2:3], v[12:13]
	v_add_nc_u32_e32 v13, 0x3c6ef372, v4
	s_mov_b32 s3, 0x2f800000
	v_xor_b32_e32 v8, v11, v5
	s_delay_alu instid0(VALU_DEP_1) | instskip(SKIP_3) | instid1(SALU_CYCLE_1)
	v_mul_u64_e32 v[10:11], s[4:5], v[8:9]
	v_add_nc_u32_e32 v9, 0xbb67ae85, v5
	v_mul_lo_u32 v8, 0xcd9e8d57, v8
	s_and_b64 s[4:5], s[6:7], 3
	s_cmp_lg_u64 s[4:5], 0
	s_delay_alu instid0(VALU_DEP_2)
	v_xor3_b32 v6, v6, v9, v15
	v_mul_lo_u32 v9, 0xd2511f53, v12
	v_add_nc_u32_e32 v12, 0x76cf5d0a, v5
	s_cselect_b32 s12, -1, 0
	s_mov_b32 s5, 0
	v_xor_b32_e32 v7, v7, v11
	v_mul_hi_u32 v11, 0xcd9e8d57, v6
	v_mul_lo_u32 v6, 0xcd9e8d57, v6
	s_delay_alu instid0(VALU_DEP_3) | instskip(SKIP_1) | instid1(VALU_DEP_4)
	v_mul_hi_u32 v10, 0xd2511f53, v7
	v_mul_lo_u32 v7, 0xd2511f53, v7
	v_xor3_b32 v8, v8, v13, v11
	v_add_nc_u32_e32 v13, 0x32370b8f, v5
	s_delay_alu instid0(VALU_DEP_4) | instskip(NEXT) | instid1(VALU_DEP_3)
	v_xor3_b32 v9, v9, v12, v10
	v_mul_hi_u32 v11, 0xd2511f53, v8
	v_add_nc_u32_e32 v12, 0xdaa66d2b, v4
	v_mul_lo_u32 v8, 0xd2511f53, v8
	s_delay_alu instid0(VALU_DEP_4) | instskip(SKIP_3) | instid1(VALU_DEP_4)
	v_mul_hi_u32 v10, 0xcd9e8d57, v9
	v_mul_lo_u32 v9, 0xcd9e8d57, v9
	v_xor3_b32 v7, v7, v13, v11
	v_add_nc_u32_e32 v13, 0x78dde6e4, v4
	v_xor3_b32 v6, v6, v12, v10
	s_delay_alu instid0(VALU_DEP_3) | instskip(SKIP_2) | instid1(VALU_DEP_4)
	v_mul_hi_u32 v11, 0xcd9e8d57, v7
	v_add_nc_u32_e32 v12, 0xed9eba14, v5
	v_mul_lo_u32 v7, 0xcd9e8d57, v7
	v_mul_hi_u32 v10, 0xd2511f53, v6
	v_mul_lo_u32 v6, 0xd2511f53, v6
	v_xor3_b32 v9, v9, v13, v11
	v_add_nc_u32_e32 v13, 0xa9066899, v5
	s_delay_alu instid0(VALU_DEP_4) | instskip(NEXT) | instid1(VALU_DEP_3)
	v_xor3_b32 v8, v8, v12, v10
	v_mul_hi_u32 v11, 0xd2511f53, v9
	v_add_nc_u32_e32 v12, 0x1715609d, v4
	v_mul_lo_u32 v9, 0xd2511f53, v9
	s_delay_alu instid0(VALU_DEP_4) | instskip(SKIP_3) | instid1(VALU_DEP_4)
	v_mul_hi_u32 v10, 0xcd9e8d57, v8
	v_mul_lo_u32 v8, 0xcd9e8d57, v8
	v_xor3_b32 v6, v6, v13, v11
	v_add_nc_u32_e32 v13, 0xb54cda56, v4
	v_xor3_b32 v7, v7, v12, v10
	s_delay_alu instid0(VALU_DEP_3) | instskip(SKIP_2) | instid1(VALU_DEP_4)
	v_mul_hi_u32 v11, 0xcd9e8d57, v6
	v_add_nc_u32_e32 v12, 0x646e171e, v5
	v_mul_lo_u32 v6, 0xcd9e8d57, v6
	v_mul_hi_u32 v10, 0xd2511f53, v7
	v_mul_lo_u32 v7, 0xd2511f53, v7
	v_xor3_b32 v8, v8, v13, v11
	v_add_nc_u32_e32 v13, 0x1fd5c5a3, v5
	s_delay_alu instid0(VALU_DEP_4) | instskip(NEXT) | instid1(VALU_DEP_3)
	v_xor3_b32 v9, v9, v12, v10
	v_mul_hi_u32 v11, 0xd2511f53, v8
	v_add_nc_u32_e32 v12, 0x5384540f, v4
	v_mul_lo_u32 v8, 0xd2511f53, v8
	s_delay_alu instid0(VALU_DEP_4)
	v_mul_hi_u32 v10, 0xcd9e8d57, v9
	v_mul_lo_u32 v9, 0xcd9e8d57, v9
	v_xor3_b32 v7, v7, v13, v11
	v_add_nc_u32_e32 v13, 0xf1bbcdc8, v4
	v_add_nc_u32_e32 v4, 0x8ff34781, v4
	v_xor3_b32 v6, v6, v12, v10
	s_delay_alu instid0(VALU_DEP_4)
	v_mul_hi_u32 v11, 0xcd9e8d57, v7
	v_add_nc_u32_e32 v12, 0xdb3d7428, v5
	v_mul_lo_u32 v7, 0xcd9e8d57, v7
	v_add_nc_u32_e32 v5, 0x96a522ad, v5
	v_mul_hi_u32 v10, 0xd2511f53, v6
	v_mul_lo_u32 v6, 0xd2511f53, v6
	v_xor3_b32 v9, v9, v13, v11
	s_delay_alu instid0(VALU_DEP_3) | instskip(NEXT) | instid1(VALU_DEP_2)
	v_xor3_b32 v8, v8, v12, v10
	v_mul_hi_u32 v11, 0xd2511f53, v9
	v_mul_lo_u32 v9, 0xd2511f53, v9
	s_delay_alu instid0(VALU_DEP_3) | instskip(SKIP_1) | instid1(VALU_DEP_4)
	v_mul_hi_u32 v10, 0xcd9e8d57, v8
	v_mul_lo_u32 v8, 0xcd9e8d57, v8
	v_xor3_b32 v5, v6, v5, v11
	s_delay_alu instid0(VALU_DEP_4) | instskip(NEXT) | instid1(VALU_DEP_4)
	v_cvt_f32_u32_e32 v9, v9
	v_xor3_b32 v4, v7, v4, v10
	s_delay_alu instid0(VALU_DEP_3) | instskip(SKIP_1) | instid1(VALU_DEP_3)
	v_cvt_f32_u32_e32 v5, v5
	v_cvt_f32_u32_e32 v8, v8
	v_cvt_f32_u32_e32 v4, v4
	s_delay_alu instid0(VALU_DEP_2) | instskip(NEXT) | instid1(VALU_DEP_2)
	v_dual_fmaak_f32 v5, s3, v5, 0x2f000000 :: v_dual_fmaak_f32 v8, s3, v8, 0x2f000000
	v_fmaak_f32 v4, s3, v4, 0x2f000000
	s_delay_alu instid0(VALU_DEP_2) | instskip(NEXT) | instid1(VALU_DEP_3)
	v_cmp_gt_f32_e64 s2, 0x800000, v5
	v_mul_f32_e32 v8, 0x40c90fdb, v8
	s_delay_alu instid0(VALU_DEP_3) | instskip(NEXT) | instid1(VALU_DEP_3)
	v_cmp_gt_f32_e32 vcc_lo, 0x800000, v4
	v_cndmask_b32_e64 v7, 0, 32, s2
	v_cndmask_b32_e64 v10, 0, 0x41b17218, s2
	s_ashr_i32 s2, s7, 31
	v_cndmask_b32_e64 v6, 0, 32, vcc_lo
	s_delay_alu instid0(VALU_DEP_3) | instskip(SKIP_2) | instid1(VALU_DEP_3)
	v_ldexp_f32 v5, v5, v7
	v_cndmask_b32_e64 v11, 0, 0x41b17218, vcc_lo
	s_lshr_b32 s4, s2, 30
	v_ldexp_f32 v4, v4, v6
	s_delay_alu instid0(VALU_DEP_3)
	v_log_f32_e32 v5, v5
	s_add_nc_u64 s[10:11], s[6:7], s[4:5]
	s_load_b64 s[4:5], s[0:1], 0x0
	s_ashr_i64 s[10:11], s[10:11], 2
	v_log_f32_e32 v4, v4
	v_nop
	s_delay_alu instid0(TRANS32_DEP_1) | instskip(NEXT) | instid1(VALU_DEP_1)
	v_dual_mul_f32 v7, 0x3f317217, v5 :: v_dual_mul_f32 v6, 0x3f317217, v4
	v_fma_f32 v7, 0x3f317217, v5, -v7
	v_cmp_gt_f32_e64 vcc_lo, 0x7f800000, |v4|
	s_delay_alu instid0(VALU_DEP_3) | instskip(NEXT) | instid1(VALU_DEP_1)
	v_fma_f32 v6, 0x3f317217, v4, -v6
	v_dual_fmac_f32 v7, 0x3377d1cf, v5 :: v_dual_fmac_f32 v6, 0x3377d1cf, v4
	s_delay_alu instid0(VALU_DEP_1) | instskip(NEXT) | instid1(VALU_DEP_1)
	v_dual_fmac_f32 v7, 0x3f317217, v5 :: v_dual_fmac_f32 v6, 0x3f317217, v4
	v_cndmask_b32_e32 v4, v4, v6, vcc_lo
	v_cmp_gt_f32_e64 vcc_lo, 0x7f800000, |v5|
	s_delay_alu instid0(VALU_DEP_3) | instskip(NEXT) | instid1(VALU_DEP_3)
	v_cndmask_b32_e32 v6, v5, v7, vcc_lo
	v_sub_f32_e32 v7, v4, v11
	v_lshlrev_b64_e32 v[4:5], 2, v[2:3]
	s_delay_alu instid0(VALU_DEP_2) | instskip(NEXT) | instid1(VALU_DEP_1)
	v_dual_sub_f32 v6, v6, v10 :: v_dual_mul_f32 v10, -2.0, v7
	v_mul_f32_e32 v11, -2.0, v6
	s_delay_alu instid0(VALU_DEP_2) | instskip(SKIP_2) | instid1(VALU_DEP_4)
	v_mul_f32_e32 v12, 0x4f800000, v10
	v_cmp_gt_f32_e32 vcc_lo, 0xf800000, v10
	v_mad_nc_u64_u32 v[6:7], v0, s6, v[4:5]
	v_mul_f32_e32 v13, 0x4f800000, v11
	v_cmp_gt_f32_e64 s2, 0xf800000, v11
	v_cndmask_b32_e32 v10, v10, v12, vcc_lo
	s_delay_alu instid0(VALU_DEP_1) | instskip(NEXT) | instid1(VALU_DEP_2)
	v_sqrt_f32_e32 v12, v10
	v_cndmask_b32_e64 v11, v11, v13, s2
	v_fmaak_f32 v9, s3, v9, 0x2f000000
	v_mad_u32 v1, v1, s6, v7
	s_delay_alu instid0(TRANS32_DEP_1) | instid1(VALU_DEP_2)
	v_dual_mul_f32 v7, 0x40c90fdb, v9 :: v_dual_add_nc_u32 v16, 1, v12
	v_add_nc_u32_e32 v9, -1, v12
	v_sqrt_f32_e32 v13, v11
	v_nop
	s_delay_alu instid0(TRANS32_DEP_1) | instskip(NEXT) | instid1(VALU_DEP_3)
	v_dual_fma_f32 v20, -v16, v12, v10 :: v_dual_add_nc_u32 v14, -1, v13
	v_dual_add_nc_u32 v15, 1, v13 :: v_dual_fma_f32 v17, -v9, v12, v10
	s_delay_alu instid0(VALU_DEP_1) | instskip(SKIP_1) | instid1(VALU_DEP_2)
	v_dual_fma_f32 v18, -v14, v13, v11 :: v_dual_fma_f32 v19, -v15, v13, v11
	s_wait_xcnt 0x0
	v_cmp_ge_f32_e64 s0, 0, v17
	s_delay_alu instid0(VALU_DEP_1) | instskip(NEXT) | instid1(VALU_DEP_3)
	v_cndmask_b32_e64 v9, v12, v9, s0
	v_cmp_ge_f32_e64 s0, 0, v18
	s_delay_alu instid0(VALU_DEP_1) | instskip(SKIP_3) | instid1(VALU_DEP_3)
	v_cndmask_b32_e64 v12, v13, v14, s0
	v_cmp_lt_f32_e64 s0, 0, v20
	v_mul_f32_e32 v13, 0.15915494, v7
	v_mad_u32 v7, v0, s7, v1
	v_cndmask_b32_e64 v9, v9, v16, s0
	v_cmp_lt_f32_e64 s0, 0, v19
	s_delay_alu instid0(VALU_DEP_4) | instskip(SKIP_1) | instid1(VALU_DEP_1)
	v_sin_f32_e32 v0, v13
	v_cos_f32_e32 v1, v13
	v_cndmask_b32_e64 v12, v12, v15, s0
	v_dual_mul_f32 v14, 0x37800000, v9 :: v_dual_mul_f32 v15, 0.15915494, v8
	s_delay_alu instid0(VALU_DEP_1) | instskip(SKIP_1) | instid1(VALU_DEP_3)
	v_dual_mul_f32 v16, 0x37800000, v12 :: v_dual_cndmask_b32 v13, v9, v14
	v_cmp_class_f32_e64 vcc_lo, v10, 0x260
	v_sin_f32_e32 v8, v15
	v_cos_f32_e32 v9, v15
	s_delay_alu instid0(VALU_DEP_1) | instskip(SKIP_1) | instid1(VALU_DEP_2)
	v_dual_cndmask_b32 v12, v12, v16, s2 :: v_dual_cndmask_b32 v10, v13, v10, vcc_lo
	v_cmp_class_f32_e64 vcc_lo, v11, 0x260
	v_cndmask_b32_e32 v12, v12, v11, vcc_lo
	v_cmp_le_i64_e32 vcc_lo, s[10:11], v[2:3]
	s_delay_alu instid0(TRANS32_DEP_1) | instid1(VALU_DEP_4)
	v_pk_mul_f32 v[2:3], v[8:9], v[10:11] op_sel_hi:[1,0]
	s_delay_alu instid0(VALU_DEP_3) | instskip(SKIP_1) | instid1(SALU_CYCLE_1)
	v_pk_mul_f32 v[0:1], v[0:1], v[12:13] op_sel_hi:[1,0]
	s_or_b32 s0, s12, vcc_lo
	s_and_saveexec_b32 s1, s0
	s_delay_alu instid0(SALU_CYCLE_1)
	s_xor_b32 s1, exec_lo, s1
	s_cbranch_execz .LBB15_25
; %bb.19:
	s_mov_b32 s2, exec_lo
	v_cmpx_gt_i64_e64 s[6:7], v[4:5]
	s_cbranch_execz .LBB15_24
; %bb.20:
	v_fma_f32 v3, s9, v3, s8
	s_wait_kmcnt 0x0
	v_lshl_add_u64 v[6:7], v[6:7], 1, s[4:5]
	v_mov_b32_e32 v9, v5
	s_delay_alu instid0(VALU_DEP_3) | instskip(SKIP_1) | instid1(VALU_DEP_2)
	v_bfe_u32 v8, v3, 16, 1
	v_cmp_o_f32_e64 s0, v3, v3
	v_add3_u32 v10, v3, v8, 0x7fff
	s_delay_alu instid0(VALU_DEP_1) | instskip(NEXT) | instid1(VALU_DEP_1)
	v_dual_lshrrev_b32 v10, 16, v10 :: v_dual_bitop2_b32 v8, 1, v4 bitop3:0x54
	v_cmp_gt_u64_e32 vcc_lo, s[6:7], v[8:9]
	s_delay_alu instid0(VALU_DEP_2)
	v_cndmask_b32_e64 v3, 0x7fc0, v10, s0
	global_store_b16 v[6:7], v3, off
	s_wait_xcnt 0x0
	s_and_b32 exec_lo, exec_lo, vcc_lo
	s_cbranch_execz .LBB15_24
; %bb.21:
	v_fma_f32 v8, s9, v2, s8
	v_mov_b32_e32 v3, v5
	s_delay_alu instid0(VALU_DEP_2) | instskip(SKIP_1) | instid1(VALU_DEP_2)
	v_bfe_u32 v2, v8, 16, 1
	v_cmp_o_f32_e64 s0, v8, v8
	v_add3_u32 v9, v8, v2, 0x7fff
	s_delay_alu instid0(VALU_DEP_1) | instskip(NEXT) | instid1(VALU_DEP_1)
	v_dual_lshrrev_b32 v9, 16, v9 :: v_dual_bitop2_b32 v2, 2, v4 bitop3:0x54
	v_cmp_gt_u64_e32 vcc_lo, s[6:7], v[2:3]
	s_delay_alu instid0(VALU_DEP_2)
	v_cndmask_b32_e64 v2, 0x7fc0, v9, s0
	global_store_b16 v[6:7], v2, off offset:2
	s_wait_xcnt 0x0
	s_and_b32 exec_lo, exec_lo, vcc_lo
	s_cbranch_execz .LBB15_24
; %bb.22:
	v_fma_f32 v1, s9, v1, s8
	s_delay_alu instid0(VALU_DEP_1) | instskip(SKIP_1) | instid1(VALU_DEP_2)
	v_bfe_u32 v2, v1, 16, 1
	v_cmp_o_f32_e64 s0, v1, v1
	v_add3_u32 v2, v1, v2, 0x7fff
	s_delay_alu instid0(VALU_DEP_1) | instskip(NEXT) | instid1(VALU_DEP_1)
	v_dual_lshrrev_b32 v2, 16, v2 :: v_dual_bitop2_b32 v4, 3, v4 bitop3:0x54
	v_cmp_gt_u64_e32 vcc_lo, s[6:7], v[4:5]
	s_delay_alu instid0(VALU_DEP_2)
	v_cndmask_b32_e64 v1, 0x7fc0, v2, s0
	global_store_b16 v[6:7], v1, off offset:4
	s_wait_xcnt 0x0
	s_and_b32 exec_lo, exec_lo, vcc_lo
	s_cbranch_execz .LBB15_24
; %bb.23:
	v_fma_f32 v0, s9, v0, s8
	s_delay_alu instid0(VALU_DEP_1) | instskip(SKIP_1) | instid1(VALU_DEP_2)
	v_bfe_u32 v1, v0, 16, 1
	v_cmp_o_f32_e32 vcc_lo, v0, v0
	v_add3_u32 v1, v0, v1, 0x7fff
	s_delay_alu instid0(VALU_DEP_1) | instskip(NEXT) | instid1(VALU_DEP_1)
	v_lshrrev_b32_e32 v1, 16, v1
	v_cndmask_b32_e32 v0, 0x7fc0, v1, vcc_lo
	global_store_b16 v[6:7], v0, off offset:6
.LBB15_24:
	s_wait_xcnt 0x0
	s_or_b32 exec_lo, exec_lo, s2
                                        ; implicit-def: $vgpr2_vgpr3
                                        ; implicit-def: $vgpr0_vgpr1
                                        ; implicit-def: $vgpr6_vgpr7
.LBB15_25:
	s_and_not1_saveexec_b32 s0, s1
	s_cbranch_execz .LBB15_27
; %bb.26:
	s_mov_b32 s0, s9
	s_delay_alu instid0(SALU_CYCLE_1) | instskip(SKIP_1) | instid1(VALU_DEP_2)
	v_pk_fma_f32 v[0:1], s[0:1], v[0:1], s[8:9] op_sel_hi:[0,1,0]
	v_pk_fma_f32 v[2:3], s[0:1], v[2:3], s[8:9] op_sel_hi:[0,1,0]
	v_bfe_u32 v4, v0, 16, 1
	s_delay_alu instid0(VALU_DEP_3) | instskip(NEXT) | instid1(VALU_DEP_3)
	v_bfe_u32 v5, v1, 16, 1
	v_bfe_u32 v8, v2, 16, 1
	v_cmp_o_f32_e32 vcc_lo, v0, v0
	v_bfe_u32 v9, v3, 16, 1
	v_add3_u32 v4, v0, v4, 0x7fff
	v_add3_u32 v5, v1, v5, 0x7fff
	;; [unrolled: 1-line block ×3, first 2 shown]
	s_delay_alu instid0(VALU_DEP_4) | instskip(NEXT) | instid1(VALU_DEP_4)
	v_add3_u32 v9, v3, v9, 0x7fff
	v_and_b32_e32 v4, 0xffff0000, v4
	s_delay_alu instid0(VALU_DEP_4) | instskip(NEXT) | instid1(VALU_DEP_4)
	v_lshrrev_b32_e32 v5, 16, v5
	v_and_b32_e32 v8, 0xffff0000, v8
	s_delay_alu instid0(VALU_DEP_3) | instskip(SKIP_4) | instid1(VALU_DEP_2)
	v_cndmask_b32_e32 v0, 0x7fc00000, v4, vcc_lo
	v_cmp_o_f32_e32 vcc_lo, v1, v1
	v_lshrrev_b32_e32 v4, 16, v9
	v_cndmask_b32_e32 v1, 0x7fc0, v5, vcc_lo
	v_cmp_o_f32_e32 vcc_lo, v2, v2
	v_or_b32_e32 v5, v0, v1
	v_cndmask_b32_e32 v2, 0x7fc00000, v8, vcc_lo
	v_cmp_o_f32_e32 vcc_lo, v3, v3
	s_wait_kmcnt 0x0
	v_lshl_add_u64 v[0:1], v[6:7], 1, s[4:5]
	v_or3_b32 v3, v5, 0, 0
	v_cndmask_b32_e32 v4, 0x7fc0, v4, vcc_lo
	s_delay_alu instid0(VALU_DEP_1)
	v_or3_b32 v2, 0, v2, v4
	global_store_b64 v[0:1], v[2:3], off
.LBB15_27:
	s_endpgm
	.section	.rodata,"a",@progbits
	.p2align	6, 0x0
	.amdhsa_kernel _ZN2at6native12_GLOBAL__N_123philox_multi_key_kernelIN3c108BFloat16EZZZZNS0_20_philox_normal_cuda_ERNS_6TensorERKS5_ddENKUlvE_clEvENKUlvE2_clEvENKUlvE_clEvEUlmmE0_ZZZNS0_20_philox_normal_cuda_ES6_S8_ddENKS9_clEvENKSA_clEvEUlfE_EEvPT_PKmllT0_T1_16OffsetCalculatorILi1EjLb0EE
		.amdhsa_group_segment_fixed_size 0
		.amdhsa_private_segment_fixed_size 0
		.amdhsa_kernarg_size 560
		.amdhsa_user_sgpr_count 2
		.amdhsa_user_sgpr_dispatch_ptr 0
		.amdhsa_user_sgpr_queue_ptr 0
		.amdhsa_user_sgpr_kernarg_segment_ptr 1
		.amdhsa_user_sgpr_dispatch_id 0
		.amdhsa_user_sgpr_kernarg_preload_length 0
		.amdhsa_user_sgpr_kernarg_preload_offset 0
		.amdhsa_user_sgpr_private_segment_size 0
		.amdhsa_wavefront_size32 1
		.amdhsa_uses_dynamic_stack 0
		.amdhsa_enable_private_segment 0
		.amdhsa_system_sgpr_workgroup_id_x 1
		.amdhsa_system_sgpr_workgroup_id_y 0
		.amdhsa_system_sgpr_workgroup_id_z 0
		.amdhsa_system_sgpr_workgroup_info 0
		.amdhsa_system_vgpr_workitem_id 0
		.amdhsa_next_free_vgpr 21
		.amdhsa_next_free_sgpr 44
		.amdhsa_named_barrier_count 0
		.amdhsa_reserve_vcc 1
		.amdhsa_float_round_mode_32 0
		.amdhsa_float_round_mode_16_64 0
		.amdhsa_float_denorm_mode_32 3
		.amdhsa_float_denorm_mode_16_64 3
		.amdhsa_fp16_overflow 0
		.amdhsa_memory_ordered 1
		.amdhsa_forward_progress 1
		.amdhsa_inst_pref_size 31
		.amdhsa_round_robin_scheduling 0
		.amdhsa_exception_fp_ieee_invalid_op 0
		.amdhsa_exception_fp_denorm_src 0
		.amdhsa_exception_fp_ieee_div_zero 0
		.amdhsa_exception_fp_ieee_overflow 0
		.amdhsa_exception_fp_ieee_underflow 0
		.amdhsa_exception_fp_ieee_inexact 0
		.amdhsa_exception_int_div_zero 0
	.end_amdhsa_kernel
	.section	.text._ZN2at6native12_GLOBAL__N_123philox_multi_key_kernelIN3c108BFloat16EZZZZNS0_20_philox_normal_cuda_ERNS_6TensorERKS5_ddENKUlvE_clEvENKUlvE2_clEvENKUlvE_clEvEUlmmE0_ZZZNS0_20_philox_normal_cuda_ES6_S8_ddENKS9_clEvENKSA_clEvEUlfE_EEvPT_PKmllT0_T1_16OffsetCalculatorILi1EjLb0EE,"axG",@progbits,_ZN2at6native12_GLOBAL__N_123philox_multi_key_kernelIN3c108BFloat16EZZZZNS0_20_philox_normal_cuda_ERNS_6TensorERKS5_ddENKUlvE_clEvENKUlvE2_clEvENKUlvE_clEvEUlmmE0_ZZZNS0_20_philox_normal_cuda_ES6_S8_ddENKS9_clEvENKSA_clEvEUlfE_EEvPT_PKmllT0_T1_16OffsetCalculatorILi1EjLb0EE,comdat
.Lfunc_end15:
	.size	_ZN2at6native12_GLOBAL__N_123philox_multi_key_kernelIN3c108BFloat16EZZZZNS0_20_philox_normal_cuda_ERNS_6TensorERKS5_ddENKUlvE_clEvENKUlvE2_clEvENKUlvE_clEvEUlmmE0_ZZZNS0_20_philox_normal_cuda_ES6_S8_ddENKS9_clEvENKSA_clEvEUlfE_EEvPT_PKmllT0_T1_16OffsetCalculatorILi1EjLb0EE, .Lfunc_end15-_ZN2at6native12_GLOBAL__N_123philox_multi_key_kernelIN3c108BFloat16EZZZZNS0_20_philox_normal_cuda_ERNS_6TensorERKS5_ddENKUlvE_clEvENKUlvE2_clEvENKUlvE_clEvEUlmmE0_ZZZNS0_20_philox_normal_cuda_ES6_S8_ddENKS9_clEvENKSA_clEvEUlfE_EEvPT_PKmllT0_T1_16OffsetCalculatorILi1EjLb0EE
                                        ; -- End function
	.set _ZN2at6native12_GLOBAL__N_123philox_multi_key_kernelIN3c108BFloat16EZZZZNS0_20_philox_normal_cuda_ERNS_6TensorERKS5_ddENKUlvE_clEvENKUlvE2_clEvENKUlvE_clEvEUlmmE0_ZZZNS0_20_philox_normal_cuda_ES6_S8_ddENKS9_clEvENKSA_clEvEUlfE_EEvPT_PKmllT0_T1_16OffsetCalculatorILi1EjLb0EE.num_vgpr, 21
	.set _ZN2at6native12_GLOBAL__N_123philox_multi_key_kernelIN3c108BFloat16EZZZZNS0_20_philox_normal_cuda_ERNS_6TensorERKS5_ddENKUlvE_clEvENKUlvE2_clEvENKUlvE_clEvEUlmmE0_ZZZNS0_20_philox_normal_cuda_ES6_S8_ddENKS9_clEvENKSA_clEvEUlfE_EEvPT_PKmllT0_T1_16OffsetCalculatorILi1EjLb0EE.num_agpr, 0
	.set _ZN2at6native12_GLOBAL__N_123philox_multi_key_kernelIN3c108BFloat16EZZZZNS0_20_philox_normal_cuda_ERNS_6TensorERKS5_ddENKUlvE_clEvENKUlvE2_clEvENKUlvE_clEvEUlmmE0_ZZZNS0_20_philox_normal_cuda_ES6_S8_ddENKS9_clEvENKSA_clEvEUlfE_EEvPT_PKmllT0_T1_16OffsetCalculatorILi1EjLb0EE.numbered_sgpr, 44
	.set _ZN2at6native12_GLOBAL__N_123philox_multi_key_kernelIN3c108BFloat16EZZZZNS0_20_philox_normal_cuda_ERNS_6TensorERKS5_ddENKUlvE_clEvENKUlvE2_clEvENKUlvE_clEvEUlmmE0_ZZZNS0_20_philox_normal_cuda_ES6_S8_ddENKS9_clEvENKSA_clEvEUlfE_EEvPT_PKmllT0_T1_16OffsetCalculatorILi1EjLb0EE.num_named_barrier, 0
	.set _ZN2at6native12_GLOBAL__N_123philox_multi_key_kernelIN3c108BFloat16EZZZZNS0_20_philox_normal_cuda_ERNS_6TensorERKS5_ddENKUlvE_clEvENKUlvE2_clEvENKUlvE_clEvEUlmmE0_ZZZNS0_20_philox_normal_cuda_ES6_S8_ddENKS9_clEvENKSA_clEvEUlfE_EEvPT_PKmllT0_T1_16OffsetCalculatorILi1EjLb0EE.private_seg_size, 0
	.set _ZN2at6native12_GLOBAL__N_123philox_multi_key_kernelIN3c108BFloat16EZZZZNS0_20_philox_normal_cuda_ERNS_6TensorERKS5_ddENKUlvE_clEvENKUlvE2_clEvENKUlvE_clEvEUlmmE0_ZZZNS0_20_philox_normal_cuda_ES6_S8_ddENKS9_clEvENKSA_clEvEUlfE_EEvPT_PKmllT0_T1_16OffsetCalculatorILi1EjLb0EE.uses_vcc, 1
	.set _ZN2at6native12_GLOBAL__N_123philox_multi_key_kernelIN3c108BFloat16EZZZZNS0_20_philox_normal_cuda_ERNS_6TensorERKS5_ddENKUlvE_clEvENKUlvE2_clEvENKUlvE_clEvEUlmmE0_ZZZNS0_20_philox_normal_cuda_ES6_S8_ddENKS9_clEvENKSA_clEvEUlfE_EEvPT_PKmllT0_T1_16OffsetCalculatorILi1EjLb0EE.uses_flat_scratch, 0
	.set _ZN2at6native12_GLOBAL__N_123philox_multi_key_kernelIN3c108BFloat16EZZZZNS0_20_philox_normal_cuda_ERNS_6TensorERKS5_ddENKUlvE_clEvENKUlvE2_clEvENKUlvE_clEvEUlmmE0_ZZZNS0_20_philox_normal_cuda_ES6_S8_ddENKS9_clEvENKSA_clEvEUlfE_EEvPT_PKmllT0_T1_16OffsetCalculatorILi1EjLb0EE.has_dyn_sized_stack, 0
	.set _ZN2at6native12_GLOBAL__N_123philox_multi_key_kernelIN3c108BFloat16EZZZZNS0_20_philox_normal_cuda_ERNS_6TensorERKS5_ddENKUlvE_clEvENKUlvE2_clEvENKUlvE_clEvEUlmmE0_ZZZNS0_20_philox_normal_cuda_ES6_S8_ddENKS9_clEvENKSA_clEvEUlfE_EEvPT_PKmllT0_T1_16OffsetCalculatorILi1EjLb0EE.has_recursion, 0
	.set _ZN2at6native12_GLOBAL__N_123philox_multi_key_kernelIN3c108BFloat16EZZZZNS0_20_philox_normal_cuda_ERNS_6TensorERKS5_ddENKUlvE_clEvENKUlvE2_clEvENKUlvE_clEvEUlmmE0_ZZZNS0_20_philox_normal_cuda_ES6_S8_ddENKS9_clEvENKSA_clEvEUlfE_EEvPT_PKmllT0_T1_16OffsetCalculatorILi1EjLb0EE.has_indirect_call, 0
	.section	.AMDGPU.csdata,"",@progbits
; Kernel info:
; codeLenInByte = 3856
; TotalNumSgprs: 46
; NumVgprs: 21
; ScratchSize: 0
; MemoryBound: 0
; FloatMode: 240
; IeeeMode: 1
; LDSByteSize: 0 bytes/workgroup (compile time only)
; SGPRBlocks: 0
; VGPRBlocks: 1
; NumSGPRsForWavesPerEU: 46
; NumVGPRsForWavesPerEU: 21
; NamedBarCnt: 0
; Occupancy: 16
; WaveLimiterHint : 1
; COMPUTE_PGM_RSRC2:SCRATCH_EN: 0
; COMPUTE_PGM_RSRC2:USER_SGPR: 2
; COMPUTE_PGM_RSRC2:TRAP_HANDLER: 0
; COMPUTE_PGM_RSRC2:TGID_X_EN: 1
; COMPUTE_PGM_RSRC2:TGID_Y_EN: 0
; COMPUTE_PGM_RSRC2:TGID_Z_EN: 0
; COMPUTE_PGM_RSRC2:TIDIG_COMP_CNT: 0
	.section	.AMDGPU.gpr_maximums,"",@progbits
	.set amdgpu.max_num_vgpr, 0
	.set amdgpu.max_num_agpr, 0
	.set amdgpu.max_num_sgpr, 0
	.section	.AMDGPU.csdata,"",@progbits
	.type	__hip_cuid_7914ac7e9dad3814,@object ; @__hip_cuid_7914ac7e9dad3814
	.section	.bss,"aw",@nobits
	.globl	__hip_cuid_7914ac7e9dad3814
__hip_cuid_7914ac7e9dad3814:
	.byte	0                               ; 0x0
	.size	__hip_cuid_7914ac7e9dad3814, 1

	.ident	"AMD clang version 22.0.0git (https://github.com/RadeonOpenCompute/llvm-project roc-7.2.4 26084 f58b06dce1f9c15707c5f808fd002e18c2accf7e)"
	.section	".note.GNU-stack","",@progbits
	.addrsig
	.addrsig_sym __hip_cuid_7914ac7e9dad3814
	.amdgpu_metadata
---
amdhsa.kernels:
  - .args:
      - .actual_access:  write_only
        .address_space:  global
        .offset:         0
        .size:           8
        .value_kind:     global_buffer
      - .actual_access:  read_only
        .address_space:  global
        .offset:         8
        .size:           8
        .value_kind:     global_buffer
      - .offset:         16
        .size:           8
        .value_kind:     by_value
      - .offset:         24
        .size:           1
        .value_kind:     by_value
      - .offset:         32
        .size:           16
        .value_kind:     by_value
      - .offset:         48
        .size:           4
        .value_kind:     hidden_block_count_x
      - .offset:         52
        .size:           4
        .value_kind:     hidden_block_count_y
      - .offset:         56
        .size:           4
        .value_kind:     hidden_block_count_z
      - .offset:         60
        .size:           2
        .value_kind:     hidden_group_size_x
      - .offset:         62
        .size:           2
        .value_kind:     hidden_group_size_y
      - .offset:         64
        .size:           2
        .value_kind:     hidden_group_size_z
      - .offset:         66
        .size:           2
        .value_kind:     hidden_remainder_x
      - .offset:         68
        .size:           2
        .value_kind:     hidden_remainder_y
      - .offset:         70
        .size:           2
        .value_kind:     hidden_remainder_z
      - .offset:         88
        .size:           8
        .value_kind:     hidden_global_offset_x
      - .offset:         96
        .size:           8
        .value_kind:     hidden_global_offset_y
      - .offset:         104
        .size:           8
        .value_kind:     hidden_global_offset_z
      - .offset:         112
        .size:           2
        .value_kind:     hidden_grid_dims
    .group_segment_fixed_size: 16384
    .kernarg_segment_align: 8
    .kernarg_segment_size: 304
    .language:       OpenCL C
    .language_version:
      - 2
      - 0
    .max_flat_workgroup_size: 1024
    .name:           _ZN2at6native12_GLOBAL__N_124philox_single_key_kernelIdZZZZNS0_21_philox_uniform_cuda_ERNS_6TensorERKS3_ddENKUlvE_clEvENKUlvE_clEvENKUlvE_clEvEUlmmE_ZZZNS0_21_philox_uniform_cuda_ES4_S6_ddENKS7_clEvENKS8_clEvEUlT_E_EEvPSB_PKmlT0_T1_
    .private_segment_fixed_size: 0
    .sgpr_count:     33
    .sgpr_spill_count: 0
    .symbol:         _ZN2at6native12_GLOBAL__N_124philox_single_key_kernelIdZZZZNS0_21_philox_uniform_cuda_ERNS_6TensorERKS3_ddENKUlvE_clEvENKUlvE_clEvENKUlvE_clEvEUlmmE_ZZZNS0_21_philox_uniform_cuda_ES4_S6_ddENKS7_clEvENKS8_clEvEUlT_E_EEvPSB_PKmlT0_T1_.kd
    .uniform_work_group_size: 1
    .uses_dynamic_stack: false
    .vgpr_count:     16
    .vgpr_spill_count: 0
    .wavefront_size: 32
  - .args:
      - .actual_access:  write_only
        .address_space:  global
        .offset:         0
        .size:           8
        .value_kind:     global_buffer
      - .actual_access:  read_only
        .address_space:  global
        .offset:         8
        .size:           8
        .value_kind:     global_buffer
      - .offset:         16
        .size:           8
        .value_kind:     by_value
      - .offset:         24
        .size:           8
        .value_kind:     by_value
      - .offset:         32
        .size:           1
        .value_kind:     by_value
      - .offset:         40
        .size:           16
        .value_kind:     by_value
      - .offset:         56
        .size:           260
        .value_kind:     by_value
      - .offset:         320
        .size:           4
        .value_kind:     hidden_block_count_x
      - .offset:         324
        .size:           4
        .value_kind:     hidden_block_count_y
      - .offset:         328
        .size:           4
        .value_kind:     hidden_block_count_z
      - .offset:         332
        .size:           2
        .value_kind:     hidden_group_size_x
      - .offset:         334
        .size:           2
        .value_kind:     hidden_group_size_y
      - .offset:         336
        .size:           2
        .value_kind:     hidden_group_size_z
      - .offset:         338
        .size:           2
        .value_kind:     hidden_remainder_x
      - .offset:         340
        .size:           2
        .value_kind:     hidden_remainder_y
      - .offset:         342
        .size:           2
        .value_kind:     hidden_remainder_z
      - .offset:         360
        .size:           8
        .value_kind:     hidden_global_offset_x
      - .offset:         368
        .size:           8
        .value_kind:     hidden_global_offset_y
      - .offset:         376
        .size:           8
        .value_kind:     hidden_global_offset_z
      - .offset:         384
        .size:           2
        .value_kind:     hidden_grid_dims
    .group_segment_fixed_size: 0
    .kernarg_segment_align: 8
    .kernarg_segment_size: 576
    .language:       OpenCL C
    .language_version:
      - 2
      - 0
    .max_flat_workgroup_size: 1024
    .name:           _ZN2at6native12_GLOBAL__N_123philox_multi_key_kernelIdZZZZNS0_21_philox_uniform_cuda_ERNS_6TensorERKS3_ddENKUlvE_clEvENKUlvE_clEvENKUlvE_clEvEUlmmE_ZZZNS0_21_philox_uniform_cuda_ES4_S6_ddENKS7_clEvENKS8_clEvEUlT_E_EEvPSB_PKmllT0_T1_16OffsetCalculatorILi1EjLb0EE
    .private_segment_fixed_size: 0
    .sgpr_count:     42
    .sgpr_spill_count: 0
    .symbol:         _ZN2at6native12_GLOBAL__N_123philox_multi_key_kernelIdZZZZNS0_21_philox_uniform_cuda_ERNS_6TensorERKS3_ddENKUlvE_clEvENKUlvE_clEvENKUlvE_clEvEUlmmE_ZZZNS0_21_philox_uniform_cuda_ES4_S6_ddENKS7_clEvENKS8_clEvEUlT_E_EEvPSB_PKmllT0_T1_16OffsetCalculatorILi1EjLb0EE.kd
    .uniform_work_group_size: 1
    .uses_dynamic_stack: false
    .vgpr_count:     20
    .vgpr_spill_count: 0
    .wavefront_size: 32
  - .args:
      - .actual_access:  write_only
        .address_space:  global
        .offset:         0
        .size:           8
        .value_kind:     global_buffer
      - .actual_access:  read_only
        .address_space:  global
        .offset:         8
        .size:           8
        .value_kind:     global_buffer
      - .offset:         16
        .size:           8
        .value_kind:     by_value
      - .offset:         24
        .size:           1
        .value_kind:     by_value
      - .offset:         28
        .size:           8
        .value_kind:     by_value
      - .offset:         40
        .size:           4
        .value_kind:     hidden_block_count_x
      - .offset:         44
        .size:           4
        .value_kind:     hidden_block_count_y
      - .offset:         48
        .size:           4
        .value_kind:     hidden_block_count_z
      - .offset:         52
        .size:           2
        .value_kind:     hidden_group_size_x
      - .offset:         54
        .size:           2
        .value_kind:     hidden_group_size_y
      - .offset:         56
        .size:           2
        .value_kind:     hidden_group_size_z
      - .offset:         58
        .size:           2
        .value_kind:     hidden_remainder_x
      - .offset:         60
        .size:           2
        .value_kind:     hidden_remainder_y
      - .offset:         62
        .size:           2
        .value_kind:     hidden_remainder_z
      - .offset:         80
        .size:           8
        .value_kind:     hidden_global_offset_x
      - .offset:         88
        .size:           8
        .value_kind:     hidden_global_offset_y
      - .offset:         96
        .size:           8
        .value_kind:     hidden_global_offset_z
      - .offset:         104
        .size:           2
        .value_kind:     hidden_grid_dims
    .group_segment_fixed_size: 16384
    .kernarg_segment_align: 8
    .kernarg_segment_size: 296
    .language:       OpenCL C
    .language_version:
      - 2
      - 0
    .max_flat_workgroup_size: 1024
    .name:           _ZN2at6native12_GLOBAL__N_124philox_single_key_kernelIfZZZZNS0_21_philox_uniform_cuda_ERNS_6TensorERKS3_ddENKUlvE_clEvENKUlvE0_clEvENKUlvE_clEvEUlmmE0_ZZZNS0_21_philox_uniform_cuda_ES4_S6_ddENKS7_clEvENKS8_clEvEUlT_E_EEvPSB_PKmlT0_T1_
    .private_segment_fixed_size: 0
    .sgpr_count:     32
    .sgpr_spill_count: 0
    .symbol:         _ZN2at6native12_GLOBAL__N_124philox_single_key_kernelIfZZZZNS0_21_philox_uniform_cuda_ERNS_6TensorERKS3_ddENKUlvE_clEvENKUlvE0_clEvENKUlvE_clEvEUlmmE0_ZZZNS0_21_philox_uniform_cuda_ES4_S6_ddENKS7_clEvENKS8_clEvEUlT_E_EEvPSB_PKmlT0_T1_.kd
    .uniform_work_group_size: 1
    .uses_dynamic_stack: false
    .vgpr_count:     16
    .vgpr_spill_count: 0
    .wavefront_size: 32
  - .args:
      - .actual_access:  write_only
        .address_space:  global
        .offset:         0
        .size:           8
        .value_kind:     global_buffer
      - .actual_access:  read_only
        .address_space:  global
        .offset:         8
        .size:           8
        .value_kind:     global_buffer
      - .offset:         16
        .size:           8
        .value_kind:     by_value
      - .offset:         24
        .size:           8
        .value_kind:     by_value
      - .offset:         32
        .size:           1
        .value_kind:     by_value
      - .offset:         36
        .size:           8
        .value_kind:     by_value
      - .offset:         44
        .size:           260
        .value_kind:     by_value
      - .offset:         304
        .size:           4
        .value_kind:     hidden_block_count_x
      - .offset:         308
        .size:           4
        .value_kind:     hidden_block_count_y
      - .offset:         312
        .size:           4
        .value_kind:     hidden_block_count_z
      - .offset:         316
        .size:           2
        .value_kind:     hidden_group_size_x
      - .offset:         318
        .size:           2
        .value_kind:     hidden_group_size_y
      - .offset:         320
        .size:           2
        .value_kind:     hidden_group_size_z
      - .offset:         322
        .size:           2
        .value_kind:     hidden_remainder_x
      - .offset:         324
        .size:           2
        .value_kind:     hidden_remainder_y
      - .offset:         326
        .size:           2
        .value_kind:     hidden_remainder_z
      - .offset:         344
        .size:           8
        .value_kind:     hidden_global_offset_x
      - .offset:         352
        .size:           8
        .value_kind:     hidden_global_offset_y
      - .offset:         360
        .size:           8
        .value_kind:     hidden_global_offset_z
      - .offset:         368
        .size:           2
        .value_kind:     hidden_grid_dims
    .group_segment_fixed_size: 0
    .kernarg_segment_align: 8
    .kernarg_segment_size: 560
    .language:       OpenCL C
    .language_version:
      - 2
      - 0
    .max_flat_workgroup_size: 1024
    .name:           _ZN2at6native12_GLOBAL__N_123philox_multi_key_kernelIfZZZZNS0_21_philox_uniform_cuda_ERNS_6TensorERKS3_ddENKUlvE_clEvENKUlvE0_clEvENKUlvE_clEvEUlmmE0_ZZZNS0_21_philox_uniform_cuda_ES4_S6_ddENKS7_clEvENKS8_clEvEUlT_E_EEvPSB_PKmllT0_T1_16OffsetCalculatorILi1EjLb0EE
    .private_segment_fixed_size: 0
    .sgpr_count:     46
    .sgpr_spill_count: 0
    .symbol:         _ZN2at6native12_GLOBAL__N_123philox_multi_key_kernelIfZZZZNS0_21_philox_uniform_cuda_ERNS_6TensorERKS3_ddENKUlvE_clEvENKUlvE0_clEvENKUlvE_clEvEUlmmE0_ZZZNS0_21_philox_uniform_cuda_ES4_S6_ddENKS7_clEvENKS8_clEvEUlT_E_EEvPSB_PKmllT0_T1_16OffsetCalculatorILi1EjLb0EE.kd
    .uniform_work_group_size: 1
    .uses_dynamic_stack: false
    .vgpr_count:     18
    .vgpr_spill_count: 0
    .wavefront_size: 32
  - .args:
      - .actual_access:  write_only
        .address_space:  global
        .offset:         0
        .size:           8
        .value_kind:     global_buffer
      - .actual_access:  read_only
        .address_space:  global
        .offset:         8
        .size:           8
        .value_kind:     global_buffer
      - .offset:         16
        .size:           8
        .value_kind:     by_value
      - .offset:         24
        .size:           1
        .value_kind:     by_value
      - .offset:         26
        .size:           4
        .value_kind:     by_value
      - .offset:         32
        .size:           4
        .value_kind:     hidden_block_count_x
      - .offset:         36
        .size:           4
        .value_kind:     hidden_block_count_y
      - .offset:         40
        .size:           4
        .value_kind:     hidden_block_count_z
      - .offset:         44
        .size:           2
        .value_kind:     hidden_group_size_x
      - .offset:         46
        .size:           2
        .value_kind:     hidden_group_size_y
      - .offset:         48
        .size:           2
        .value_kind:     hidden_group_size_z
      - .offset:         50
        .size:           2
        .value_kind:     hidden_remainder_x
      - .offset:         52
        .size:           2
        .value_kind:     hidden_remainder_y
      - .offset:         54
        .size:           2
        .value_kind:     hidden_remainder_z
      - .offset:         72
        .size:           8
        .value_kind:     hidden_global_offset_x
      - .offset:         80
        .size:           8
        .value_kind:     hidden_global_offset_y
      - .offset:         88
        .size:           8
        .value_kind:     hidden_global_offset_z
      - .offset:         96
        .size:           2
        .value_kind:     hidden_grid_dims
    .group_segment_fixed_size: 16384
    .kernarg_segment_align: 8
    .kernarg_segment_size: 288
    .language:       OpenCL C
    .language_version:
      - 2
      - 0
    .max_flat_workgroup_size: 1024
    .name:           _ZN2at6native12_GLOBAL__N_124philox_single_key_kernelIN3c104HalfEZZZZNS0_21_philox_uniform_cuda_ERNS_6TensorERKS5_ddENKUlvE_clEvENKUlvE1_clEvENKUlvE_clEvEUlmmE0_ZZZNS0_21_philox_uniform_cuda_ES6_S8_ddENKS9_clEvENKSA_clEvEUlT_E_EEvPSD_PKmlT0_T1_
    .private_segment_fixed_size: 0
    .sgpr_count:     30
    .sgpr_spill_count: 0
    .symbol:         _ZN2at6native12_GLOBAL__N_124philox_single_key_kernelIN3c104HalfEZZZZNS0_21_philox_uniform_cuda_ERNS_6TensorERKS5_ddENKUlvE_clEvENKUlvE1_clEvENKUlvE_clEvEUlmmE0_ZZZNS0_21_philox_uniform_cuda_ES6_S8_ddENKS9_clEvENKSA_clEvEUlT_E_EEvPSD_PKmlT0_T1_.kd
    .uniform_work_group_size: 1
    .uses_dynamic_stack: false
    .vgpr_count:     18
    .vgpr_spill_count: 0
    .wavefront_size: 32
  - .args:
      - .actual_access:  write_only
        .address_space:  global
        .offset:         0
        .size:           8
        .value_kind:     global_buffer
      - .actual_access:  read_only
        .address_space:  global
        .offset:         8
        .size:           8
        .value_kind:     global_buffer
      - .offset:         16
        .size:           8
        .value_kind:     by_value
      - .offset:         24
        .size:           8
        .value_kind:     by_value
      - .offset:         32
        .size:           1
        .value_kind:     by_value
      - .offset:         34
        .size:           4
        .value_kind:     by_value
      - .offset:         40
        .size:           260
        .value_kind:     by_value
      - .offset:         304
        .size:           4
        .value_kind:     hidden_block_count_x
      - .offset:         308
        .size:           4
        .value_kind:     hidden_block_count_y
      - .offset:         312
        .size:           4
        .value_kind:     hidden_block_count_z
      - .offset:         316
        .size:           2
        .value_kind:     hidden_group_size_x
      - .offset:         318
        .size:           2
        .value_kind:     hidden_group_size_y
      - .offset:         320
        .size:           2
        .value_kind:     hidden_group_size_z
      - .offset:         322
        .size:           2
        .value_kind:     hidden_remainder_x
      - .offset:         324
        .size:           2
        .value_kind:     hidden_remainder_y
      - .offset:         326
        .size:           2
        .value_kind:     hidden_remainder_z
      - .offset:         344
        .size:           8
        .value_kind:     hidden_global_offset_x
      - .offset:         352
        .size:           8
        .value_kind:     hidden_global_offset_y
      - .offset:         360
        .size:           8
        .value_kind:     hidden_global_offset_z
      - .offset:         368
        .size:           2
        .value_kind:     hidden_grid_dims
    .group_segment_fixed_size: 0
    .kernarg_segment_align: 8
    .kernarg_segment_size: 560
    .language:       OpenCL C
    .language_version:
      - 2
      - 0
    .max_flat_workgroup_size: 1024
    .name:           _ZN2at6native12_GLOBAL__N_123philox_multi_key_kernelIN3c104HalfEZZZZNS0_21_philox_uniform_cuda_ERNS_6TensorERKS5_ddENKUlvE_clEvENKUlvE1_clEvENKUlvE_clEvEUlmmE0_ZZZNS0_21_philox_uniform_cuda_ES6_S8_ddENKS9_clEvENKSA_clEvEUlT_E_EEvPSD_PKmllT0_T1_16OffsetCalculatorILi1EjLb0EE
    .private_segment_fixed_size: 0
    .sgpr_count:     42
    .sgpr_spill_count: 0
    .symbol:         _ZN2at6native12_GLOBAL__N_123philox_multi_key_kernelIN3c104HalfEZZZZNS0_21_philox_uniform_cuda_ERNS_6TensorERKS5_ddENKUlvE_clEvENKUlvE1_clEvENKUlvE_clEvEUlmmE0_ZZZNS0_21_philox_uniform_cuda_ES6_S8_ddENKS9_clEvENKSA_clEvEUlT_E_EEvPSD_PKmllT0_T1_16OffsetCalculatorILi1EjLb0EE.kd
    .uniform_work_group_size: 1
    .uses_dynamic_stack: false
    .vgpr_count:     18
    .vgpr_spill_count: 0
    .wavefront_size: 32
  - .args:
      - .actual_access:  write_only
        .address_space:  global
        .offset:         0
        .size:           8
        .value_kind:     global_buffer
      - .actual_access:  read_only
        .address_space:  global
        .offset:         8
        .size:           8
        .value_kind:     global_buffer
      - .offset:         16
        .size:           8
        .value_kind:     by_value
      - .offset:         24
        .size:           1
        .value_kind:     by_value
      - .offset:         26
        .size:           4
        .value_kind:     by_value
      - .offset:         32
        .size:           4
        .value_kind:     hidden_block_count_x
      - .offset:         36
        .size:           4
        .value_kind:     hidden_block_count_y
      - .offset:         40
        .size:           4
        .value_kind:     hidden_block_count_z
      - .offset:         44
        .size:           2
        .value_kind:     hidden_group_size_x
      - .offset:         46
        .size:           2
        .value_kind:     hidden_group_size_y
      - .offset:         48
        .size:           2
        .value_kind:     hidden_group_size_z
      - .offset:         50
        .size:           2
        .value_kind:     hidden_remainder_x
      - .offset:         52
        .size:           2
        .value_kind:     hidden_remainder_y
      - .offset:         54
        .size:           2
        .value_kind:     hidden_remainder_z
      - .offset:         72
        .size:           8
        .value_kind:     hidden_global_offset_x
      - .offset:         80
        .size:           8
        .value_kind:     hidden_global_offset_y
      - .offset:         88
        .size:           8
        .value_kind:     hidden_global_offset_z
      - .offset:         96
        .size:           2
        .value_kind:     hidden_grid_dims
    .group_segment_fixed_size: 16384
    .kernarg_segment_align: 8
    .kernarg_segment_size: 288
    .language:       OpenCL C
    .language_version:
      - 2
      - 0
    .max_flat_workgroup_size: 1024
    .name:           _ZN2at6native12_GLOBAL__N_124philox_single_key_kernelIN3c108BFloat16EZZZZNS0_21_philox_uniform_cuda_ERNS_6TensorERKS5_ddENKUlvE_clEvENKUlvE2_clEvENKUlvE_clEvEUlmmE0_ZZZNS0_21_philox_uniform_cuda_ES6_S8_ddENKS9_clEvENKSA_clEvEUlT_E_EEvPSD_PKmlT0_T1_
    .private_segment_fixed_size: 0
    .sgpr_count:     31
    .sgpr_spill_count: 0
    .symbol:         _ZN2at6native12_GLOBAL__N_124philox_single_key_kernelIN3c108BFloat16EZZZZNS0_21_philox_uniform_cuda_ERNS_6TensorERKS5_ddENKUlvE_clEvENKUlvE2_clEvENKUlvE_clEvEUlmmE0_ZZZNS0_21_philox_uniform_cuda_ES6_S8_ddENKS9_clEvENKSA_clEvEUlT_E_EEvPSD_PKmlT0_T1_.kd
    .uniform_work_group_size: 1
    .uses_dynamic_stack: false
    .vgpr_count:     16
    .vgpr_spill_count: 0
    .wavefront_size: 32
  - .args:
      - .actual_access:  write_only
        .address_space:  global
        .offset:         0
        .size:           8
        .value_kind:     global_buffer
      - .actual_access:  read_only
        .address_space:  global
        .offset:         8
        .size:           8
        .value_kind:     global_buffer
      - .offset:         16
        .size:           8
        .value_kind:     by_value
      - .offset:         24
        .size:           8
        .value_kind:     by_value
      - .offset:         32
        .size:           1
        .value_kind:     by_value
      - .offset:         34
        .size:           4
        .value_kind:     by_value
      - .offset:         40
        .size:           260
        .value_kind:     by_value
      - .offset:         304
        .size:           4
        .value_kind:     hidden_block_count_x
      - .offset:         308
        .size:           4
        .value_kind:     hidden_block_count_y
      - .offset:         312
        .size:           4
        .value_kind:     hidden_block_count_z
      - .offset:         316
        .size:           2
        .value_kind:     hidden_group_size_x
      - .offset:         318
        .size:           2
        .value_kind:     hidden_group_size_y
      - .offset:         320
        .size:           2
        .value_kind:     hidden_group_size_z
      - .offset:         322
        .size:           2
        .value_kind:     hidden_remainder_x
      - .offset:         324
        .size:           2
        .value_kind:     hidden_remainder_y
      - .offset:         326
        .size:           2
        .value_kind:     hidden_remainder_z
      - .offset:         344
        .size:           8
        .value_kind:     hidden_global_offset_x
      - .offset:         352
        .size:           8
        .value_kind:     hidden_global_offset_y
      - .offset:         360
        .size:           8
        .value_kind:     hidden_global_offset_z
      - .offset:         368
        .size:           2
        .value_kind:     hidden_grid_dims
    .group_segment_fixed_size: 0
    .kernarg_segment_align: 8
    .kernarg_segment_size: 560
    .language:       OpenCL C
    .language_version:
      - 2
      - 0
    .max_flat_workgroup_size: 1024
    .name:           _ZN2at6native12_GLOBAL__N_123philox_multi_key_kernelIN3c108BFloat16EZZZZNS0_21_philox_uniform_cuda_ERNS_6TensorERKS5_ddENKUlvE_clEvENKUlvE2_clEvENKUlvE_clEvEUlmmE0_ZZZNS0_21_philox_uniform_cuda_ES6_S8_ddENKS9_clEvENKSA_clEvEUlT_E_EEvPSD_PKmllT0_T1_16OffsetCalculatorILi1EjLb0EE
    .private_segment_fixed_size: 0
    .sgpr_count:     42
    .sgpr_spill_count: 0
    .symbol:         _ZN2at6native12_GLOBAL__N_123philox_multi_key_kernelIN3c108BFloat16EZZZZNS0_21_philox_uniform_cuda_ERNS_6TensorERKS5_ddENKUlvE_clEvENKUlvE2_clEvENKUlvE_clEvEUlmmE0_ZZZNS0_21_philox_uniform_cuda_ES6_S8_ddENKS9_clEvENKSA_clEvEUlT_E_EEvPSD_PKmllT0_T1_16OffsetCalculatorILi1EjLb0EE.kd
    .uniform_work_group_size: 1
    .uses_dynamic_stack: false
    .vgpr_count:     18
    .vgpr_spill_count: 0
    .wavefront_size: 32
  - .args:
      - .actual_access:  write_only
        .address_space:  global
        .offset:         0
        .size:           8
        .value_kind:     global_buffer
      - .actual_access:  read_only
        .address_space:  global
        .offset:         8
        .size:           8
        .value_kind:     global_buffer
      - .offset:         16
        .size:           8
        .value_kind:     by_value
      - .offset:         24
        .size:           1
        .value_kind:     by_value
      - .offset:         32
        .size:           16
        .value_kind:     by_value
      - .offset:         48
        .size:           4
        .value_kind:     hidden_block_count_x
      - .offset:         52
        .size:           4
        .value_kind:     hidden_block_count_y
      - .offset:         56
        .size:           4
        .value_kind:     hidden_block_count_z
      - .offset:         60
        .size:           2
        .value_kind:     hidden_group_size_x
      - .offset:         62
        .size:           2
        .value_kind:     hidden_group_size_y
      - .offset:         64
        .size:           2
        .value_kind:     hidden_group_size_z
      - .offset:         66
        .size:           2
        .value_kind:     hidden_remainder_x
      - .offset:         68
        .size:           2
        .value_kind:     hidden_remainder_y
      - .offset:         70
        .size:           2
        .value_kind:     hidden_remainder_z
      - .offset:         88
        .size:           8
        .value_kind:     hidden_global_offset_x
      - .offset:         96
        .size:           8
        .value_kind:     hidden_global_offset_y
      - .offset:         104
        .size:           8
        .value_kind:     hidden_global_offset_z
      - .offset:         112
        .size:           2
        .value_kind:     hidden_grid_dims
    .group_segment_fixed_size: 16384
    .kernarg_segment_align: 8
    .kernarg_segment_size: 304
    .language:       OpenCL C
    .language_version:
      - 2
      - 0
    .max_flat_workgroup_size: 1024
    .name:           _ZN2at6native12_GLOBAL__N_124philox_single_key_kernelIdZZZZNS0_20_philox_normal_cuda_ERNS_6TensorERKS3_ddENKUlvE_clEvENKUlvE_clEvENKUlvE_clEvEUlmmE_ZZZNS0_20_philox_normal_cuda_ES4_S6_ddENKS7_clEvENKS8_clEvEUldE_EEvPT_PKmlT0_T1_
    .private_segment_fixed_size: 0
    .sgpr_count:     28
    .sgpr_spill_count: 0
    .symbol:         _ZN2at6native12_GLOBAL__N_124philox_single_key_kernelIdZZZZNS0_20_philox_normal_cuda_ERNS_6TensorERKS3_ddENKUlvE_clEvENKUlvE_clEvENKUlvE_clEvEUlmmE_ZZZNS0_20_philox_normal_cuda_ES4_S6_ddENKS7_clEvENKS8_clEvEUldE_EEvPT_PKmlT0_T1_.kd
    .uniform_work_group_size: 1
    .uses_dynamic_stack: false
    .vgpr_count:     42
    .vgpr_spill_count: 0
    .wavefront_size: 32
  - .args:
      - .actual_access:  write_only
        .address_space:  global
        .offset:         0
        .size:           8
        .value_kind:     global_buffer
      - .actual_access:  read_only
        .address_space:  global
        .offset:         8
        .size:           8
        .value_kind:     global_buffer
      - .offset:         16
        .size:           8
        .value_kind:     by_value
      - .offset:         24
        .size:           8
        .value_kind:     by_value
      - .offset:         32
        .size:           1
        .value_kind:     by_value
      - .offset:         40
        .size:           16
        .value_kind:     by_value
      - .offset:         56
        .size:           260
        .value_kind:     by_value
      - .offset:         320
        .size:           4
        .value_kind:     hidden_block_count_x
      - .offset:         324
        .size:           4
        .value_kind:     hidden_block_count_y
      - .offset:         328
        .size:           4
        .value_kind:     hidden_block_count_z
      - .offset:         332
        .size:           2
        .value_kind:     hidden_group_size_x
      - .offset:         334
        .size:           2
        .value_kind:     hidden_group_size_y
      - .offset:         336
        .size:           2
        .value_kind:     hidden_group_size_z
      - .offset:         338
        .size:           2
        .value_kind:     hidden_remainder_x
      - .offset:         340
        .size:           2
        .value_kind:     hidden_remainder_y
      - .offset:         342
        .size:           2
        .value_kind:     hidden_remainder_z
      - .offset:         360
        .size:           8
        .value_kind:     hidden_global_offset_x
      - .offset:         368
        .size:           8
        .value_kind:     hidden_global_offset_y
      - .offset:         376
        .size:           8
        .value_kind:     hidden_global_offset_z
      - .offset:         384
        .size:           2
        .value_kind:     hidden_grid_dims
    .group_segment_fixed_size: 0
    .kernarg_segment_align: 8
    .kernarg_segment_size: 576
    .language:       OpenCL C
    .language_version:
      - 2
      - 0
    .max_flat_workgroup_size: 1024
    .name:           _ZN2at6native12_GLOBAL__N_123philox_multi_key_kernelIdZZZZNS0_20_philox_normal_cuda_ERNS_6TensorERKS3_ddENKUlvE_clEvENKUlvE_clEvENKUlvE_clEvEUlmmE_ZZZNS0_20_philox_normal_cuda_ES4_S6_ddENKS7_clEvENKS8_clEvEUldE_EEvPT_PKmllT0_T1_16OffsetCalculatorILi1EjLb0EE
    .private_segment_fixed_size: 0
    .sgpr_count:     42
    .sgpr_spill_count: 0
    .symbol:         _ZN2at6native12_GLOBAL__N_123philox_multi_key_kernelIdZZZZNS0_20_philox_normal_cuda_ERNS_6TensorERKS3_ddENKUlvE_clEvENKUlvE_clEvENKUlvE_clEvEUlmmE_ZZZNS0_20_philox_normal_cuda_ES4_S6_ddENKS7_clEvENKS8_clEvEUldE_EEvPT_PKmllT0_T1_16OffsetCalculatorILi1EjLb0EE.kd
    .uniform_work_group_size: 1
    .uses_dynamic_stack: false
    .vgpr_count:     44
    .vgpr_spill_count: 0
    .wavefront_size: 32
  - .args:
      - .actual_access:  write_only
        .address_space:  global
        .offset:         0
        .size:           8
        .value_kind:     global_buffer
      - .actual_access:  read_only
        .address_space:  global
        .offset:         8
        .size:           8
        .value_kind:     global_buffer
      - .offset:         16
        .size:           8
        .value_kind:     by_value
      - .offset:         24
        .size:           1
        .value_kind:     by_value
      - .offset:         28
        .size:           8
        .value_kind:     by_value
      - .offset:         40
        .size:           4
        .value_kind:     hidden_block_count_x
      - .offset:         44
        .size:           4
        .value_kind:     hidden_block_count_y
      - .offset:         48
        .size:           4
        .value_kind:     hidden_block_count_z
      - .offset:         52
        .size:           2
        .value_kind:     hidden_group_size_x
      - .offset:         54
        .size:           2
        .value_kind:     hidden_group_size_y
      - .offset:         56
        .size:           2
        .value_kind:     hidden_group_size_z
      - .offset:         58
        .size:           2
        .value_kind:     hidden_remainder_x
      - .offset:         60
        .size:           2
        .value_kind:     hidden_remainder_y
      - .offset:         62
        .size:           2
        .value_kind:     hidden_remainder_z
      - .offset:         80
        .size:           8
        .value_kind:     hidden_global_offset_x
      - .offset:         88
        .size:           8
        .value_kind:     hidden_global_offset_y
      - .offset:         96
        .size:           8
        .value_kind:     hidden_global_offset_z
      - .offset:         104
        .size:           2
        .value_kind:     hidden_grid_dims
    .group_segment_fixed_size: 16384
    .kernarg_segment_align: 8
    .kernarg_segment_size: 296
    .language:       OpenCL C
    .language_version:
      - 2
      - 0
    .max_flat_workgroup_size: 1024
    .name:           _ZN2at6native12_GLOBAL__N_124philox_single_key_kernelIfZZZZNS0_20_philox_normal_cuda_ERNS_6TensorERKS3_ddENKUlvE_clEvENKUlvE0_clEvENKUlvE_clEvEUlmmE0_ZZZNS0_20_philox_normal_cuda_ES4_S6_ddENKS7_clEvENKS8_clEvEUlfE_EEvPT_PKmlT0_T1_
    .private_segment_fixed_size: 0
    .sgpr_count:     26
    .sgpr_spill_count: 0
    .symbol:         _ZN2at6native12_GLOBAL__N_124philox_single_key_kernelIfZZZZNS0_20_philox_normal_cuda_ERNS_6TensorERKS3_ddENKUlvE_clEvENKUlvE0_clEvENKUlvE_clEvEUlmmE0_ZZZNS0_20_philox_normal_cuda_ES4_S6_ddENKS7_clEvENKS8_clEvEUlfE_EEvPT_PKmlT0_T1_.kd
    .uniform_work_group_size: 1
    .uses_dynamic_stack: false
    .vgpr_count:     18
    .vgpr_spill_count: 0
    .wavefront_size: 32
  - .args:
      - .actual_access:  write_only
        .address_space:  global
        .offset:         0
        .size:           8
        .value_kind:     global_buffer
      - .actual_access:  read_only
        .address_space:  global
        .offset:         8
        .size:           8
        .value_kind:     global_buffer
      - .offset:         16
        .size:           8
        .value_kind:     by_value
      - .offset:         24
        .size:           8
        .value_kind:     by_value
      - .offset:         32
        .size:           1
        .value_kind:     by_value
      - .offset:         36
        .size:           8
        .value_kind:     by_value
      - .offset:         44
        .size:           260
        .value_kind:     by_value
      - .offset:         304
        .size:           4
        .value_kind:     hidden_block_count_x
      - .offset:         308
        .size:           4
        .value_kind:     hidden_block_count_y
      - .offset:         312
        .size:           4
        .value_kind:     hidden_block_count_z
      - .offset:         316
        .size:           2
        .value_kind:     hidden_group_size_x
      - .offset:         318
        .size:           2
        .value_kind:     hidden_group_size_y
      - .offset:         320
        .size:           2
        .value_kind:     hidden_group_size_z
      - .offset:         322
        .size:           2
        .value_kind:     hidden_remainder_x
      - .offset:         324
        .size:           2
        .value_kind:     hidden_remainder_y
      - .offset:         326
        .size:           2
        .value_kind:     hidden_remainder_z
      - .offset:         344
        .size:           8
        .value_kind:     hidden_global_offset_x
      - .offset:         352
        .size:           8
        .value_kind:     hidden_global_offset_y
      - .offset:         360
        .size:           8
        .value_kind:     hidden_global_offset_z
      - .offset:         368
        .size:           2
        .value_kind:     hidden_grid_dims
    .group_segment_fixed_size: 0
    .kernarg_segment_align: 8
    .kernarg_segment_size: 560
    .language:       OpenCL C
    .language_version:
      - 2
      - 0
    .max_flat_workgroup_size: 1024
    .name:           _ZN2at6native12_GLOBAL__N_123philox_multi_key_kernelIfZZZZNS0_20_philox_normal_cuda_ERNS_6TensorERKS3_ddENKUlvE_clEvENKUlvE0_clEvENKUlvE_clEvEUlmmE0_ZZZNS0_20_philox_normal_cuda_ES4_S6_ddENKS7_clEvENKS8_clEvEUlfE_EEvPT_PKmllT0_T1_16OffsetCalculatorILi1EjLb0EE
    .private_segment_fixed_size: 0
    .sgpr_count:     46
    .sgpr_spill_count: 0
    .symbol:         _ZN2at6native12_GLOBAL__N_123philox_multi_key_kernelIfZZZZNS0_20_philox_normal_cuda_ERNS_6TensorERKS3_ddENKUlvE_clEvENKUlvE0_clEvENKUlvE_clEvEUlmmE0_ZZZNS0_20_philox_normal_cuda_ES4_S6_ddENKS7_clEvENKS8_clEvEUlfE_EEvPT_PKmllT0_T1_16OffsetCalculatorILi1EjLb0EE.kd
    .uniform_work_group_size: 1
    .uses_dynamic_stack: false
    .vgpr_count:     21
    .vgpr_spill_count: 0
    .wavefront_size: 32
  - .args:
      - .actual_access:  write_only
        .address_space:  global
        .offset:         0
        .size:           8
        .value_kind:     global_buffer
      - .actual_access:  read_only
        .address_space:  global
        .offset:         8
        .size:           8
        .value_kind:     global_buffer
      - .offset:         16
        .size:           8
        .value_kind:     by_value
      - .offset:         24
        .size:           1
        .value_kind:     by_value
      - .offset:         28
        .size:           8
        .value_kind:     by_value
      - .offset:         40
        .size:           4
        .value_kind:     hidden_block_count_x
      - .offset:         44
        .size:           4
        .value_kind:     hidden_block_count_y
      - .offset:         48
        .size:           4
        .value_kind:     hidden_block_count_z
      - .offset:         52
        .size:           2
        .value_kind:     hidden_group_size_x
      - .offset:         54
        .size:           2
        .value_kind:     hidden_group_size_y
      - .offset:         56
        .size:           2
        .value_kind:     hidden_group_size_z
      - .offset:         58
        .size:           2
        .value_kind:     hidden_remainder_x
      - .offset:         60
        .size:           2
        .value_kind:     hidden_remainder_y
      - .offset:         62
        .size:           2
        .value_kind:     hidden_remainder_z
      - .offset:         80
        .size:           8
        .value_kind:     hidden_global_offset_x
      - .offset:         88
        .size:           8
        .value_kind:     hidden_global_offset_y
      - .offset:         96
        .size:           8
        .value_kind:     hidden_global_offset_z
      - .offset:         104
        .size:           2
        .value_kind:     hidden_grid_dims
    .group_segment_fixed_size: 16384
    .kernarg_segment_align: 8
    .kernarg_segment_size: 296
    .language:       OpenCL C
    .language_version:
      - 2
      - 0
    .max_flat_workgroup_size: 1024
    .name:           _ZN2at6native12_GLOBAL__N_124philox_single_key_kernelIN3c104HalfEZZZZNS0_20_philox_normal_cuda_ERNS_6TensorERKS5_ddENKUlvE_clEvENKUlvE1_clEvENKUlvE_clEvEUlmmE0_ZZZNS0_20_philox_normal_cuda_ES6_S8_ddENKS9_clEvENKSA_clEvEUlfE_EEvPT_PKmlT0_T1_
    .private_segment_fixed_size: 0
    .sgpr_count:     26
    .sgpr_spill_count: 0
    .symbol:         _ZN2at6native12_GLOBAL__N_124philox_single_key_kernelIN3c104HalfEZZZZNS0_20_philox_normal_cuda_ERNS_6TensorERKS5_ddENKUlvE_clEvENKUlvE1_clEvENKUlvE_clEvEUlmmE0_ZZZNS0_20_philox_normal_cuda_ES6_S8_ddENKS9_clEvENKSA_clEvEUlfE_EEvPT_PKmlT0_T1_.kd
    .uniform_work_group_size: 1
    .uses_dynamic_stack: false
    .vgpr_count:     16
    .vgpr_spill_count: 0
    .wavefront_size: 32
  - .args:
      - .actual_access:  write_only
        .address_space:  global
        .offset:         0
        .size:           8
        .value_kind:     global_buffer
      - .actual_access:  read_only
        .address_space:  global
        .offset:         8
        .size:           8
        .value_kind:     global_buffer
      - .offset:         16
        .size:           8
        .value_kind:     by_value
      - .offset:         24
        .size:           8
        .value_kind:     by_value
      - .offset:         32
        .size:           1
        .value_kind:     by_value
      - .offset:         36
        .size:           8
        .value_kind:     by_value
      - .offset:         44
        .size:           260
        .value_kind:     by_value
      - .offset:         304
        .size:           4
        .value_kind:     hidden_block_count_x
      - .offset:         308
        .size:           4
        .value_kind:     hidden_block_count_y
      - .offset:         312
        .size:           4
        .value_kind:     hidden_block_count_z
      - .offset:         316
        .size:           2
        .value_kind:     hidden_group_size_x
      - .offset:         318
        .size:           2
        .value_kind:     hidden_group_size_y
      - .offset:         320
        .size:           2
        .value_kind:     hidden_group_size_z
      - .offset:         322
        .size:           2
        .value_kind:     hidden_remainder_x
      - .offset:         324
        .size:           2
        .value_kind:     hidden_remainder_y
      - .offset:         326
        .size:           2
        .value_kind:     hidden_remainder_z
      - .offset:         344
        .size:           8
        .value_kind:     hidden_global_offset_x
      - .offset:         352
        .size:           8
        .value_kind:     hidden_global_offset_y
      - .offset:         360
        .size:           8
        .value_kind:     hidden_global_offset_z
      - .offset:         368
        .size:           2
        .value_kind:     hidden_grid_dims
    .group_segment_fixed_size: 0
    .kernarg_segment_align: 8
    .kernarg_segment_size: 560
    .language:       OpenCL C
    .language_version:
      - 2
      - 0
    .max_flat_workgroup_size: 1024
    .name:           _ZN2at6native12_GLOBAL__N_123philox_multi_key_kernelIN3c104HalfEZZZZNS0_20_philox_normal_cuda_ERNS_6TensorERKS5_ddENKUlvE_clEvENKUlvE1_clEvENKUlvE_clEvEUlmmE0_ZZZNS0_20_philox_normal_cuda_ES6_S8_ddENKS9_clEvENKSA_clEvEUlfE_EEvPT_PKmllT0_T1_16OffsetCalculatorILi1EjLb0EE
    .private_segment_fixed_size: 0
    .sgpr_count:     46
    .sgpr_spill_count: 0
    .symbol:         _ZN2at6native12_GLOBAL__N_123philox_multi_key_kernelIN3c104HalfEZZZZNS0_20_philox_normal_cuda_ERNS_6TensorERKS5_ddENKUlvE_clEvENKUlvE1_clEvENKUlvE_clEvEUlmmE0_ZZZNS0_20_philox_normal_cuda_ES6_S8_ddENKS9_clEvENKSA_clEvEUlfE_EEvPT_PKmllT0_T1_16OffsetCalculatorILi1EjLb0EE.kd
    .uniform_work_group_size: 1
    .uses_dynamic_stack: false
    .vgpr_count:     21
    .vgpr_spill_count: 0
    .wavefront_size: 32
  - .args:
      - .actual_access:  write_only
        .address_space:  global
        .offset:         0
        .size:           8
        .value_kind:     global_buffer
      - .actual_access:  read_only
        .address_space:  global
        .offset:         8
        .size:           8
        .value_kind:     global_buffer
      - .offset:         16
        .size:           8
        .value_kind:     by_value
      - .offset:         24
        .size:           1
        .value_kind:     by_value
      - .offset:         28
        .size:           8
        .value_kind:     by_value
      - .offset:         40
        .size:           4
        .value_kind:     hidden_block_count_x
      - .offset:         44
        .size:           4
        .value_kind:     hidden_block_count_y
      - .offset:         48
        .size:           4
        .value_kind:     hidden_block_count_z
      - .offset:         52
        .size:           2
        .value_kind:     hidden_group_size_x
      - .offset:         54
        .size:           2
        .value_kind:     hidden_group_size_y
      - .offset:         56
        .size:           2
        .value_kind:     hidden_group_size_z
      - .offset:         58
        .size:           2
        .value_kind:     hidden_remainder_x
      - .offset:         60
        .size:           2
        .value_kind:     hidden_remainder_y
      - .offset:         62
        .size:           2
        .value_kind:     hidden_remainder_z
      - .offset:         80
        .size:           8
        .value_kind:     hidden_global_offset_x
      - .offset:         88
        .size:           8
        .value_kind:     hidden_global_offset_y
      - .offset:         96
        .size:           8
        .value_kind:     hidden_global_offset_z
      - .offset:         104
        .size:           2
        .value_kind:     hidden_grid_dims
    .group_segment_fixed_size: 16384
    .kernarg_segment_align: 8
    .kernarg_segment_size: 296
    .language:       OpenCL C
    .language_version:
      - 2
      - 0
    .max_flat_workgroup_size: 1024
    .name:           _ZN2at6native12_GLOBAL__N_124philox_single_key_kernelIN3c108BFloat16EZZZZNS0_20_philox_normal_cuda_ERNS_6TensorERKS5_ddENKUlvE_clEvENKUlvE2_clEvENKUlvE_clEvEUlmmE0_ZZZNS0_20_philox_normal_cuda_ES6_S8_ddENKS9_clEvENKSA_clEvEUlfE_EEvPT_PKmlT0_T1_
    .private_segment_fixed_size: 0
    .sgpr_count:     26
    .sgpr_spill_count: 0
    .symbol:         _ZN2at6native12_GLOBAL__N_124philox_single_key_kernelIN3c108BFloat16EZZZZNS0_20_philox_normal_cuda_ERNS_6TensorERKS5_ddENKUlvE_clEvENKUlvE2_clEvENKUlvE_clEvEUlmmE0_ZZZNS0_20_philox_normal_cuda_ES6_S8_ddENKS9_clEvENKSA_clEvEUlfE_EEvPT_PKmlT0_T1_.kd
    .uniform_work_group_size: 1
    .uses_dynamic_stack: false
    .vgpr_count:     16
    .vgpr_spill_count: 0
    .wavefront_size: 32
  - .args:
      - .actual_access:  write_only
        .address_space:  global
        .offset:         0
        .size:           8
        .value_kind:     global_buffer
      - .actual_access:  read_only
        .address_space:  global
        .offset:         8
        .size:           8
        .value_kind:     global_buffer
      - .offset:         16
        .size:           8
        .value_kind:     by_value
      - .offset:         24
        .size:           8
        .value_kind:     by_value
      - .offset:         32
        .size:           1
        .value_kind:     by_value
      - .offset:         36
        .size:           8
        .value_kind:     by_value
      - .offset:         44
        .size:           260
        .value_kind:     by_value
      - .offset:         304
        .size:           4
        .value_kind:     hidden_block_count_x
      - .offset:         308
        .size:           4
        .value_kind:     hidden_block_count_y
      - .offset:         312
        .size:           4
        .value_kind:     hidden_block_count_z
      - .offset:         316
        .size:           2
        .value_kind:     hidden_group_size_x
      - .offset:         318
        .size:           2
        .value_kind:     hidden_group_size_y
      - .offset:         320
        .size:           2
        .value_kind:     hidden_group_size_z
      - .offset:         322
        .size:           2
        .value_kind:     hidden_remainder_x
      - .offset:         324
        .size:           2
        .value_kind:     hidden_remainder_y
      - .offset:         326
        .size:           2
        .value_kind:     hidden_remainder_z
      - .offset:         344
        .size:           8
        .value_kind:     hidden_global_offset_x
      - .offset:         352
        .size:           8
        .value_kind:     hidden_global_offset_y
      - .offset:         360
        .size:           8
        .value_kind:     hidden_global_offset_z
      - .offset:         368
        .size:           2
        .value_kind:     hidden_grid_dims
    .group_segment_fixed_size: 0
    .kernarg_segment_align: 8
    .kernarg_segment_size: 560
    .language:       OpenCL C
    .language_version:
      - 2
      - 0
    .max_flat_workgroup_size: 1024
    .name:           _ZN2at6native12_GLOBAL__N_123philox_multi_key_kernelIN3c108BFloat16EZZZZNS0_20_philox_normal_cuda_ERNS_6TensorERKS5_ddENKUlvE_clEvENKUlvE2_clEvENKUlvE_clEvEUlmmE0_ZZZNS0_20_philox_normal_cuda_ES6_S8_ddENKS9_clEvENKSA_clEvEUlfE_EEvPT_PKmllT0_T1_16OffsetCalculatorILi1EjLb0EE
    .private_segment_fixed_size: 0
    .sgpr_count:     46
    .sgpr_spill_count: 0
    .symbol:         _ZN2at6native12_GLOBAL__N_123philox_multi_key_kernelIN3c108BFloat16EZZZZNS0_20_philox_normal_cuda_ERNS_6TensorERKS5_ddENKUlvE_clEvENKUlvE2_clEvENKUlvE_clEvEUlmmE0_ZZZNS0_20_philox_normal_cuda_ES6_S8_ddENKS9_clEvENKSA_clEvEUlfE_EEvPT_PKmllT0_T1_16OffsetCalculatorILi1EjLb0EE.kd
    .uniform_work_group_size: 1
    .uses_dynamic_stack: false
    .vgpr_count:     21
    .vgpr_spill_count: 0
    .wavefront_size: 32
amdhsa.target:   amdgcn-amd-amdhsa--gfx1250
amdhsa.version:
  - 1
  - 2
...

	.end_amdgpu_metadata
